;; amdgpu-corpus repo=pytorch/pytorch kind=compiled arch=gfx90a opt=O3
	.text
	.amdgcn_target "amdgcn-amd-amdhsa--gfx90a"
	.amdhsa_code_object_version 6
	.section	.text._ZN2at6native6detailL51split_with_sizes_copy_out_contiguous_no_cast_kernelEPPcS3_PlS4_S4_ll,"axG",@progbits,_ZN2at6native6detailL51split_with_sizes_copy_out_contiguous_no_cast_kernelEPPcS3_PlS4_S4_ll,comdat
	.globl	_ZN2at6native6detailL51split_with_sizes_copy_out_contiguous_no_cast_kernelEPPcS3_PlS4_S4_ll ; -- Begin function _ZN2at6native6detailL51split_with_sizes_copy_out_contiguous_no_cast_kernelEPPcS3_PlS4_S4_ll
	.p2align	8
	.type	_ZN2at6native6detailL51split_with_sizes_copy_out_contiguous_no_cast_kernelEPPcS3_PlS4_S4_ll,@function
_ZN2at6native6detailL51split_with_sizes_copy_out_contiguous_no_cast_kernelEPPcS3_PlS4_S4_ll: ; @_ZN2at6native6detailL51split_with_sizes_copy_out_contiguous_no_cast_kernelEPPcS3_PlS4_S4_ll
; %bb.0:
	s_load_dwordx4 s[20:23], s[4:5], 0x30
	s_mov_b32 s28, s7
	s_mov_b32 s29, 0
	s_waitcnt lgkmcnt(0)
	v_pk_mov_b32 v[2:3], s[20:21], s[20:21] op_sel:[0,1]
	v_cmp_ge_i64_e32 vcc, s[28:29], v[2:3]
	s_cbranch_vccnz .LBB0_14
; %bb.1:
	s_load_dwordx8 s[8:15], s[4:5], 0x0
	s_mov_b32 s7, s29
	s_lshl_b64 s[0:1], s[6:7], 3
	v_mov_b32_e32 v1, 0
	v_pk_mov_b32 v[10:11], s[20:21], s[20:21] op_sel:[0,1]
	s_waitcnt lgkmcnt(0)
	s_add_u32 s0, s14, s0
	s_addc_u32 s1, s15, s1
	s_load_dwordx2 s[2:3], s[0:1], 0x0
	s_load_dwordx4 s[16:19], s[4:5], 0x20
	s_load_dword s30, s[4:5], 0x3c
	s_load_dword s14, s[4:5], 0x44
	s_waitcnt lgkmcnt(0)
	s_lshl_b64 s[0:1], s[2:3], 3
	s_add_u32 s2, s16, s0
	s_addc_u32 s3, s17, s1
	s_load_dwordx4 s[24:27], s[2:3], 0x0
	s_and_b32 s22, s14, 0xffff
	v_mov_b32_e32 v6, s22
	s_waitcnt lgkmcnt(0)
	s_sub_u32 s2, s6, s24
	s_subb_u32 s4, 0, s25
	s_mul_hi_u32 s5, s2, s22
	s_mul_i32 s4, s4, s22
	s_mul_i32 s14, s2, s22
	v_mad_u64_u32 v[2:3], s[2:3], s2, v6, v[0:1]
	s_add_i32 s15, s5, s4
	s_add_u32 s2, s12, s0
	s_addc_u32 s3, s13, s1
	v_add_u32_e32 v3, s4, v3
	s_load_dwordx2 s[4:5], s[2:3], 0x0
	s_add_u32 s2, s8, s0
	s_addc_u32 s3, s9, s1
	s_add_u32 s0, s10, s0
	s_addc_u32 s1, s11, s1
	s_load_dwordx2 s[10:11], s[0:1], 0x0
	s_sub_u32 s0, s26, s24
	s_subb_u32 s1, s27, s25
	s_load_dwordx2 s[8:9], s[2:3], 0x0
	s_mul_i32 s1, s1, s22
	s_mul_hi_u32 s2, s0, s22
	s_add_i32 s3, s2, s1
	s_mul_i32 s2, s0, s22
	s_lshl_b64 s[12:13], s[2:3], 4
	s_lshl_b64 s[6:7], s[6:7], 4
	;; [unrolled: 1-line block ×3, first 2 shown]
	s_sub_u32 s6, s6, s16
	s_subb_u32 s7, s7, s17
	v_lshlrev_b32_e32 v0, 4, v0
	s_mul_i32 s16, s7, s22
	v_mad_u64_u32 v[6:7], s[6:7], s6, v6, v[0:1]
	s_lshl_b64 s[6:7], s[14:15], 4
	s_mul_i32 s14, s19, s28
	s_mul_hi_u32 s15, s18, s28
	s_add_i32 s15, s15, s14
	s_mul_i32 s14, s18, s28
	s_add_u32 s14, s6, s14
	s_addc_u32 s15, s7, s15
	s_waitcnt lgkmcnt(0)
	s_add_u32 s14, s10, s14
	s_addc_u32 s15, s11, s15
	v_mov_b32_e32 v1, s15
	v_add_co_u32_e32 v8, vcc, s14, v0
	s_mul_i32 s14, s19, s30
	s_mul_hi_u32 s15, s18, s30
	v_add_u32_e32 v7, s16, v7
	s_add_i32 s14, s15, s14
	s_mul_i32 s15, s5, s28
	s_mul_hi_u32 s16, s4, s28
	s_add_i32 s16, s16, s15
	s_mul_i32 s15, s4, s28
	s_add_u32 s6, s6, s15
	v_addc_co_u32_e32 v1, vcc, 0, v1, vcc
	s_addc_u32 s7, s7, s16
	v_add_co_u32_e32 v8, vcc, 8, v8
	s_add_u32 s6, s8, s6
	v_addc_co_u32_e32 v1, vcc, 0, v1, vcc
	s_addc_u32 s7, s9, s7
	v_mov_b32_e32 v9, s7
	v_add_co_u32_e32 v0, vcc, s6, v0
	v_addc_co_u32_e32 v9, vcc, 0, v9, vcc
	s_mul_i32 s6, s5, s30
	s_mul_hi_u32 s7, s4, s30
	v_pk_mov_b32 v[4:5], s[2:3], s[2:3] op_sel:[0,1]
	v_add_co_u32_e32 v0, vcc, 8, v0
	s_add_i32 s6, s7, s6
	v_cmp_ge_i64_e64 s[0:1], s[4:5], v[4:5]
	v_lshlrev_b64 v[4:5], 4, v[2:3]
	v_cmp_gt_i64_e64 s[2:3], s[4:5], v[2:3]
	s_mul_i32 s24, s18, s30
	v_addc_co_u32_e32 v9, vcc, 0, v9, vcc
	s_mul_i32 s25, s4, s30
	v_mov_b32_e32 v14, s14
	v_mov_b32_e32 v15, s6
	s_branch .LBB0_3
.LBB0_2:                                ;   in Loop: Header=BB0_3 Depth=1
	s_or_b64 exec, exec, s[14:15]
	v_add_co_u32_e32 v8, vcc, s24, v8
	v_addc_co_u32_e32 v1, vcc, v1, v14, vcc
	s_add_u32 s28, s28, s30
	v_add_co_u32_e32 v0, vcc, s25, v0
	s_addc_u32 s29, s29, 0
	v_addc_co_u32_e32 v9, vcc, v9, v15, vcc
	v_cmp_ge_i64_e32 vcc, s[28:29], v[10:11]
	s_cbranch_vccnz .LBB0_14
.LBB0_3:                                ; =>This Loop Header: Depth=1
                                        ;     Child Loop BB0_6 Depth 2
	s_mul_i32 s6, s28, s5
	s_mul_hi_u32 s7, s28, s4
	s_add_i32 s6, s7, s6
	s_mul_i32 s7, s29, s4
	s_add_i32 s6, s6, s7
	s_mul_i32 s7, s28, s4
	s_add_u32 s26, s8, s7
	s_addc_u32 s27, s9, s6
	s_mul_i32 s6, s28, s19
	s_mul_hi_u32 s7, s28, s18
	s_add_i32 s6, s7, s6
	s_mul_i32 s7, s29, s18
	s_add_i32 s6, s6, s7
	s_mul_i32 s7, s28, s18
	s_add_u32 s31, s10, s7
	s_addc_u32 s33, s11, s6
	s_and_b64 vcc, exec, s[0:1]
	s_cbranch_vccz .LBB0_10
; %bb.4:                                ;   in Loop: Header=BB0_3 Depth=1
	s_add_u32 s6, s26, 15
	s_addc_u32 s7, s27, 0
	s_ashr_i32 s14, s7, 31
	s_lshr_b32 s14, s14, 28
	s_add_u32 s6, s6, s14
	s_addc_u32 s7, s7, 0
	s_and_b32 s6, s6, -16
	s_sub_u32 s14, s6, s26
	s_subb_u32 s15, s7, s27
	s_sub_u32 s6, s4, s14
	s_subb_u32 s7, s5, s15
	s_ashr_i32 s16, s7, 31
	s_lshr_b32 s16, s16, 28
	s_add_u32 s6, s6, s16
	s_addc_u32 s17, s7, 0
	s_and_b32 s16, s6, -16
	s_add_u32 s6, s16, s14
	s_addc_u32 s7, s17, s15
	v_cmp_gt_i64_e32 vcc, s[16:17], v[4:5]
	s_and_saveexec_b64 s[16:17], vcc
	s_cbranch_execz .LBB0_7
; %bb.5:                                ;   in Loop: Header=BB0_3 Depth=1
	s_mov_b64 s[20:21], 0
	s_mov_b64 s[22:23], s[14:15]
.LBB0_6:                                ;   Parent Loop BB0_3 Depth=1
                                        ; =>  This Inner Loop Header: Depth=2
	v_mov_b32_e32 v20, s23
	v_add_co_u32_e32 v12, vcc, s22, v8
	v_addc_co_u32_e32 v13, vcc, v1, v20, vcc
	global_load_dwordx4 v[16:19], v[12:13], off offset:-8
	v_add_co_u32_e32 v12, vcc, s22, v0
	s_add_u32 s22, s22, s12
	v_addc_co_u32_e32 v13, vcc, v9, v20, vcc
	s_addc_u32 s23, s23, s13
	v_mov_b32_e32 v21, s23
	v_add_co_u32_e32 v20, vcc, s22, v6
	v_addc_co_u32_e32 v21, vcc, v7, v21, vcc
	v_cmp_le_i64_e32 vcc, s[6:7], v[20:21]
	s_or_b64 s[20:21], vcc, s[20:21]
	s_waitcnt vmcnt(0)
	global_store_dwordx4 v[12:13], v[16:19], off offset:-8
	s_andn2_b64 exec, exec, s[20:21]
	s_cbranch_execnz .LBB0_6
.LBB0_7:                                ;   in Loop: Header=BB0_3 Depth=1
	s_or_b64 exec, exec, s[16:17]
	v_cmp_gt_i64_e32 vcc, s[14:15], v[2:3]
	s_and_b64 s[16:17], s[2:3], vcc
	s_and_saveexec_b64 s[14:15], s[16:17]
	s_cbranch_execz .LBB0_9
; %bb.8:                                ;   in Loop: Header=BB0_3 Depth=1
	v_mov_b32_e32 v13, s33
	v_add_co_u32_e32 v12, vcc, s31, v2
	v_addc_co_u32_e32 v13, vcc, v13, v3, vcc
	global_load_ubyte v16, v[12:13], off
	v_mov_b32_e32 v13, s27
	v_add_co_u32_e32 v12, vcc, s26, v2
	v_addc_co_u32_e32 v13, vcc, v13, v3, vcc
	s_waitcnt vmcnt(0)
	global_store_byte v[12:13], v16, off
.LBB0_9:                                ;   in Loop: Header=BB0_3 Depth=1
	s_or_b64 exec, exec, s[14:15]
	v_mov_b32_e32 v13, s7
	v_add_co_u32_e32 v12, vcc, s6, v2
	v_addc_co_u32_e32 v13, vcc, v13, v3, vcc
	v_cmp_gt_i64_e64 s[6:7], s[4:5], v[12:13]
	s_branch .LBB0_12
.LBB0_10:                               ;   in Loop: Header=BB0_3 Depth=1
	s_mov_b64 s[6:7], 0
                                        ; implicit-def: $vgpr12_vgpr13
	s_cbranch_execz .LBB0_12
; %bb.11:                               ;   in Loop: Header=BB0_3 Depth=1
	s_andn2_b64 s[6:7], s[6:7], exec
	s_and_b64 s[14:15], s[2:3], exec
	s_or_b64 s[6:7], s[6:7], s[14:15]
	v_pk_mov_b32 v[12:13], v[2:3], v[2:3] op_sel:[0,1]
.LBB0_12:                               ;   in Loop: Header=BB0_3 Depth=1
	s_and_saveexec_b64 s[14:15], s[6:7]
	s_cbranch_execz .LBB0_2
; %bb.13:                               ;   in Loop: Header=BB0_3 Depth=1
	v_mov_b32_e32 v17, s33
	v_add_co_u32_e32 v16, vcc, s31, v12
	v_addc_co_u32_e32 v17, vcc, v17, v13, vcc
	global_load_ubyte v16, v[16:17], off
	v_mov_b32_e32 v17, s27
	v_add_co_u32_e32 v12, vcc, s26, v12
	v_addc_co_u32_e32 v13, vcc, v17, v13, vcc
	s_waitcnt vmcnt(0)
	global_store_byte v[12:13], v16, off
	s_branch .LBB0_2
.LBB0_14:
	s_endpgm
	.section	.rodata,"a",@progbits
	.p2align	6, 0x0
	.amdhsa_kernel _ZN2at6native6detailL51split_with_sizes_copy_out_contiguous_no_cast_kernelEPPcS3_PlS4_S4_ll
		.amdhsa_group_segment_fixed_size 0
		.amdhsa_private_segment_fixed_size 0
		.amdhsa_kernarg_size 312
		.amdhsa_user_sgpr_count 6
		.amdhsa_user_sgpr_private_segment_buffer 1
		.amdhsa_user_sgpr_dispatch_ptr 0
		.amdhsa_user_sgpr_queue_ptr 0
		.amdhsa_user_sgpr_kernarg_segment_ptr 1
		.amdhsa_user_sgpr_dispatch_id 0
		.amdhsa_user_sgpr_flat_scratch_init 0
		.amdhsa_user_sgpr_kernarg_preload_length 0
		.amdhsa_user_sgpr_kernarg_preload_offset 0
		.amdhsa_user_sgpr_private_segment_size 0
		.amdhsa_uses_dynamic_stack 0
		.amdhsa_system_sgpr_private_segment_wavefront_offset 0
		.amdhsa_system_sgpr_workgroup_id_x 1
		.amdhsa_system_sgpr_workgroup_id_y 1
		.amdhsa_system_sgpr_workgroup_id_z 0
		.amdhsa_system_sgpr_workgroup_info 0
		.amdhsa_system_vgpr_workitem_id 0
		.amdhsa_next_free_vgpr 22
		.amdhsa_next_free_sgpr 34
		.amdhsa_accum_offset 24
		.amdhsa_reserve_vcc 1
		.amdhsa_reserve_flat_scratch 0
		.amdhsa_float_round_mode_32 0
		.amdhsa_float_round_mode_16_64 0
		.amdhsa_float_denorm_mode_32 3
		.amdhsa_float_denorm_mode_16_64 3
		.amdhsa_dx10_clamp 1
		.amdhsa_ieee_mode 1
		.amdhsa_fp16_overflow 0
		.amdhsa_tg_split 0
		.amdhsa_exception_fp_ieee_invalid_op 0
		.amdhsa_exception_fp_denorm_src 0
		.amdhsa_exception_fp_ieee_div_zero 0
		.amdhsa_exception_fp_ieee_overflow 0
		.amdhsa_exception_fp_ieee_underflow 0
		.amdhsa_exception_fp_ieee_inexact 0
		.amdhsa_exception_int_div_zero 0
	.end_amdhsa_kernel
	.section	.text._ZN2at6native6detailL51split_with_sizes_copy_out_contiguous_no_cast_kernelEPPcS3_PlS4_S4_ll,"axG",@progbits,_ZN2at6native6detailL51split_with_sizes_copy_out_contiguous_no_cast_kernelEPPcS3_PlS4_S4_ll,comdat
.Lfunc_end0:
	.size	_ZN2at6native6detailL51split_with_sizes_copy_out_contiguous_no_cast_kernelEPPcS3_PlS4_S4_ll, .Lfunc_end0-_ZN2at6native6detailL51split_with_sizes_copy_out_contiguous_no_cast_kernelEPPcS3_PlS4_S4_ll
                                        ; -- End function
	.section	.AMDGPU.csdata,"",@progbits
; Kernel info:
; codeLenInByte = 940
; NumSgprs: 38
; NumVgprs: 22
; NumAgprs: 0
; TotalNumVgprs: 22
; ScratchSize: 0
; MemoryBound: 0
; FloatMode: 240
; IeeeMode: 1
; LDSByteSize: 0 bytes/workgroup (compile time only)
; SGPRBlocks: 4
; VGPRBlocks: 2
; NumSGPRsForWavesPerEU: 38
; NumVGPRsForWavesPerEU: 22
; AccumOffset: 24
; Occupancy: 8
; WaveLimiterHint : 1
; COMPUTE_PGM_RSRC2:SCRATCH_EN: 0
; COMPUTE_PGM_RSRC2:USER_SGPR: 6
; COMPUTE_PGM_RSRC2:TRAP_HANDLER: 0
; COMPUTE_PGM_RSRC2:TGID_X_EN: 1
; COMPUTE_PGM_RSRC2:TGID_Y_EN: 1
; COMPUTE_PGM_RSRC2:TGID_Z_EN: 0
; COMPUTE_PGM_RSRC2:TIDIG_COMP_CNT: 0
; COMPUTE_PGM_RSRC3_GFX90A:ACCUM_OFFSET: 5
; COMPUTE_PGM_RSRC3_GFX90A:TG_SPLIT: 0
	.section	.text._ZN2at6native6detailL21chunk_cat_cuda_kernelIccEEvPPT0_PT_PlS8_S8_S8_S8_S8_lll,"axG",@progbits,_ZN2at6native6detailL21chunk_cat_cuda_kernelIccEEvPPT0_PT_PlS8_S8_S8_S8_S8_lll,comdat
	.globl	_ZN2at6native6detailL21chunk_cat_cuda_kernelIccEEvPPT0_PT_PlS8_S8_S8_S8_S8_lll ; -- Begin function _ZN2at6native6detailL21chunk_cat_cuda_kernelIccEEvPPT0_PT_PlS8_S8_S8_S8_S8_lll
	.p2align	8
	.type	_ZN2at6native6detailL21chunk_cat_cuda_kernelIccEEvPPT0_PT_PlS8_S8_S8_S8_S8_lll,@function
_ZN2at6native6detailL21chunk_cat_cuda_kernelIccEEvPPT0_PT_PlS8_S8_S8_S8_S8_lll: ; @_ZN2at6native6detailL21chunk_cat_cuda_kernelIccEEvPPT0_PT_PlS8_S8_S8_S8_S8_lll
; %bb.0:
	s_load_dwordx16 s[12:27], s[4:5], 0x0
	s_mov_b32 s0, s7
	s_mov_b32 s7, 0
	s_lshl_b64 s[2:3], s[6:7], 3
	s_waitcnt lgkmcnt(0)
	s_add_u32 s2, s16, s2
	s_addc_u32 s3, s17, s3
	s_load_dwordx2 s[2:3], s[2:3], 0x0
	s_waitcnt lgkmcnt(0)
	s_lshl_b64 s[30:31], s[2:3], 3
	s_add_u32 s34, s20, s30
	s_addc_u32 s35, s21, s31
	s_add_u32 s26, s26, s30
	s_addc_u32 s27, s27, s31
	;; [unrolled: 2-line block ×5, first 2 shown]
	s_load_dwordx2 s[10:11], s[2:3], 0x0
	s_load_dwordx2 s[12:13], s[4:5], 0x50
	s_waitcnt lgkmcnt(0)
	s_mul_i32 s1, s11, s0
	s_mul_hi_u32 s2, s10, s0
	s_add_i32 s25, s2, s1
	s_mul_i32 s24, s10, s0
	s_or_b64 s[2:3], s[24:25], s[12:13]
	s_mov_b32 s2, s7
	s_cmp_lg_u64 s[2:3], 0
	s_cbranch_scc0 .LBB1_26
; %bb.1:
	s_ashr_i32 s16, s13, 31
	s_add_u32 s2, s12, s16
	s_mov_b32 s17, s16
	s_addc_u32 s3, s13, s16
	s_xor_b64 s[20:21], s[2:3], s[16:17]
	v_cvt_f32_u32_e32 v1, s20
	v_cvt_f32_u32_e32 v2, s21
	s_sub_u32 s1, 0, s20
	s_subb_u32 s2, 0, s21
	v_madmk_f32 v1, v2, 0x4f800000, v1
	v_rcp_f32_e32 v1, v1
	v_mul_f32_e32 v1, 0x5f7ffffc, v1
	v_mul_f32_e32 v2, 0x2f800000, v1
	v_trunc_f32_e32 v2, v2
	v_madmk_f32 v1, v2, 0xcf800000, v1
	v_cvt_u32_f32_e32 v2, v2
	v_cvt_u32_f32_e32 v1, v1
	v_readfirstlane_b32 s3, v2
	v_readfirstlane_b32 s9, v1
	s_mul_i32 s22, s1, s3
	s_mul_hi_u32 s33, s1, s9
	s_mul_i32 s23, s2, s9
	s_add_i32 s22, s33, s22
	s_add_i32 s22, s22, s23
	s_mul_i32 s40, s1, s9
	s_mul_hi_u32 s23, s9, s22
	s_mul_i32 s33, s9, s22
	s_mul_hi_u32 s9, s9, s40
	s_add_u32 s9, s9, s33
	s_addc_u32 s23, 0, s23
	s_mul_hi_u32 s41, s3, s40
	s_mul_i32 s40, s3, s40
	s_add_u32 s9, s9, s40
	s_mul_hi_u32 s33, s3, s22
	s_addc_u32 s9, s23, s41
	s_addc_u32 s23, s33, 0
	s_mul_i32 s22, s3, s22
	s_add_u32 s9, s9, s22
	s_addc_u32 s22, 0, s23
	v_add_co_u32_e32 v1, vcc, s9, v1
	s_cmp_lg_u64 vcc, 0
	s_addc_u32 s3, s3, s22
	v_readfirstlane_b32 s22, v1
	s_mul_i32 s9, s1, s3
	s_mul_hi_u32 s23, s1, s22
	s_add_i32 s9, s23, s9
	s_mul_i32 s2, s2, s22
	s_add_i32 s9, s9, s2
	s_mul_i32 s1, s1, s22
	s_mul_hi_u32 s23, s3, s1
	s_mul_i32 s33, s3, s1
	s_mul_i32 s41, s22, s9
	s_mul_hi_u32 s1, s22, s1
	s_mul_hi_u32 s40, s22, s9
	s_add_u32 s1, s1, s41
	s_addc_u32 s22, 0, s40
	s_add_u32 s1, s1, s33
	s_mul_hi_u32 s2, s3, s9
	s_addc_u32 s1, s22, s23
	s_addc_u32 s2, s2, 0
	s_mul_i32 s9, s3, s9
	s_add_u32 s1, s1, s9
	s_addc_u32 s2, 0, s2
	v_add_co_u32_e32 v1, vcc, s1, v1
	s_cmp_lg_u64 vcc, 0
	s_addc_u32 s1, s3, s2
	s_ashr_i32 s22, s25, 31
	s_add_u32 s2, s24, s22
	s_mov_b32 s23, s22
	s_addc_u32 s3, s25, s22
	s_xor_b64 s[40:41], s[2:3], s[22:23]
	v_readfirstlane_b32 s9, v1
	s_mul_i32 s3, s40, s1
	s_mul_hi_u32 s25, s40, s9
	s_mul_hi_u32 s2, s40, s1
	s_add_u32 s3, s25, s3
	s_addc_u32 s2, 0, s2
	s_mul_hi_u32 s33, s41, s9
	s_mul_i32 s9, s41, s9
	s_add_u32 s3, s3, s9
	s_mul_hi_u32 s25, s41, s1
	s_addc_u32 s2, s2, s33
	s_addc_u32 s3, s25, 0
	s_mul_i32 s1, s41, s1
	s_add_u32 s1, s2, s1
	s_addc_u32 s9, 0, s3
	s_mul_i32 s2, s20, s9
	s_mul_hi_u32 s3, s20, s1
	s_add_i32 s2, s3, s2
	s_mul_i32 s3, s21, s1
	s_add_i32 s25, s2, s3
	s_mul_i32 s3, s20, s1
	v_mov_b32_e32 v1, s3
	s_sub_i32 s2, s41, s25
	v_sub_co_u32_e32 v1, vcc, s40, v1
	s_cmp_lg_u64 vcc, 0
	s_subb_u32 s33, s2, s21
	v_subrev_co_u32_e64 v2, s[2:3], s20, v1
	s_cmp_lg_u64 s[2:3], 0
	s_subb_u32 s2, s33, 0
	s_cmp_ge_u32 s2, s21
	v_readfirstlane_b32 s33, v2
	s_cselect_b32 s3, -1, 0
	s_cmp_ge_u32 s33, s20
	s_cselect_b32 s33, -1, 0
	s_cmp_eq_u32 s2, s21
	s_cselect_b32 s2, s33, s3
	s_add_u32 s3, s1, 1
	s_addc_u32 s33, s9, 0
	s_add_u32 s40, s1, 2
	s_addc_u32 s42, s9, 0
	s_cmp_lg_u32 s2, 0
	s_cselect_b32 s2, s40, s3
	s_cselect_b32 s3, s42, s33
	s_cmp_lg_u64 vcc, 0
	s_subb_u32 s25, s41, s25
	s_cmp_ge_u32 s25, s21
	v_readfirstlane_b32 s40, v1
	s_cselect_b32 s33, -1, 0
	s_cmp_ge_u32 s40, s20
	s_cselect_b32 s20, -1, 0
	s_cmp_eq_u32 s25, s21
	s_cselect_b32 s20, s20, s33
	s_cmp_lg_u32 s20, 0
	s_cselect_b32 s3, s3, s9
	s_cselect_b32 s2, s2, s1
	s_xor_b64 s[16:17], s[22:23], s[16:17]
	s_xor_b64 s[2:3], s[2:3], s[16:17]
	s_sub_u32 s16, s2, s16
	s_subb_u32 s17, s3, s17
	s_load_dwordx4 s[20:23], s[4:5], 0x40
	v_cvt_f32_u32_e32 v1, s12
	s_cbranch_execnz .LBB1_3
.LBB1_2:
	v_rcp_iflag_f32_e32 v2, v1
	s_sub_i32 s1, 0, s12
	s_mov_b32 s17, 0
	v_mul_f32_e32 v2, 0x4f7ffffe, v2
	v_cvt_u32_f32_e32 v2, v2
	v_readfirstlane_b32 s2, v2
	s_mul_i32 s1, s1, s2
	s_mul_hi_u32 s1, s2, s1
	s_add_i32 s2, s2, s1
	s_mul_hi_u32 s1, s24, s2
	s_mul_i32 s3, s1, s12
	s_sub_i32 s3, s24, s3
	s_add_i32 s2, s1, 1
	s_sub_i32 s4, s3, s12
	s_cmp_ge_u32 s3, s12
	s_cselect_b32 s1, s2, s1
	s_cselect_b32 s3, s4, s3
	s_add_i32 s2, s1, 1
	s_cmp_ge_u32 s3, s12
	s_cselect_b32 s16, s2, s1
.LBB1_3:
	s_add_u32 s2, s18, s30
	s_load_dwordx2 s[24:25], s[34:35], 0x0
	s_load_dwordx2 s[4:5], s[36:37], 0x0
	;; [unrolled: 1-line block ×3, first 2 shown]
	s_addc_u32 s3, s19, s31
	s_load_dwordx2 s[18:19], s[2:3], 0x0
	s_or_b64 s[2:3], s[10:11], s[12:13]
	s_mov_b32 s2, 0
	s_cmp_lg_u64 s[2:3], 0
	s_cbranch_scc0 .LBB1_27
; %bb.4:
	s_ashr_i32 s34, s13, 31
	s_add_u32 s2, s12, s34
	s_mov_b32 s35, s34
	s_addc_u32 s3, s13, s34
	s_xor_b64 s[36:37], s[2:3], s[34:35]
	v_cvt_f32_u32_e32 v2, s36
	v_cvt_f32_u32_e32 v3, s37
	s_sub_u32 s1, 0, s36
	s_subb_u32 s2, 0, s37
	v_madmk_f32 v2, v3, 0x4f800000, v2
	v_rcp_f32_e32 v2, v2
	v_mul_f32_e32 v2, 0x5f7ffffc, v2
	v_mul_f32_e32 v3, 0x2f800000, v2
	v_trunc_f32_e32 v3, v3
	v_madmk_f32 v2, v3, 0xcf800000, v2
	v_cvt_u32_f32_e32 v3, v3
	v_cvt_u32_f32_e32 v2, v2
	v_readfirstlane_b32 s3, v3
	v_readfirstlane_b32 s9, v2
	s_mul_i32 s13, s1, s3
	s_mul_hi_u32 s38, s1, s9
	s_mul_i32 s33, s2, s9
	s_add_i32 s13, s38, s13
	s_add_i32 s13, s13, s33
	s_mul_i32 s39, s1, s9
	s_mul_hi_u32 s33, s9, s13
	s_mul_i32 s38, s9, s13
	s_mul_hi_u32 s9, s9, s39
	s_add_u32 s9, s9, s38
	s_addc_u32 s33, 0, s33
	s_mul_hi_u32 s40, s3, s39
	s_mul_i32 s39, s3, s39
	s_add_u32 s9, s9, s39
	s_mul_hi_u32 s38, s3, s13
	s_addc_u32 s9, s33, s40
	s_addc_u32 s33, s38, 0
	s_mul_i32 s13, s3, s13
	s_add_u32 s9, s9, s13
	s_addc_u32 s13, 0, s33
	v_add_co_u32_e32 v2, vcc, s9, v2
	s_cmp_lg_u64 vcc, 0
	s_addc_u32 s3, s3, s13
	v_readfirstlane_b32 s13, v2
	s_mul_i32 s9, s1, s3
	s_mul_hi_u32 s33, s1, s13
	s_add_i32 s9, s33, s9
	s_mul_i32 s2, s2, s13
	s_add_i32 s9, s9, s2
	s_mul_i32 s1, s1, s13
	s_mul_hi_u32 s33, s3, s1
	s_mul_i32 s38, s3, s1
	s_mul_i32 s40, s13, s9
	s_mul_hi_u32 s1, s13, s1
	s_mul_hi_u32 s39, s13, s9
	s_add_u32 s1, s1, s40
	s_addc_u32 s13, 0, s39
	s_add_u32 s1, s1, s38
	s_mul_hi_u32 s2, s3, s9
	s_addc_u32 s1, s13, s33
	s_addc_u32 s2, s2, 0
	s_mul_i32 s9, s3, s9
	s_add_u32 s1, s1, s9
	s_addc_u32 s2, 0, s2
	v_add_co_u32_e32 v2, vcc, s1, v2
	s_cmp_lg_u64 vcc, 0
	s_addc_u32 s1, s3, s2
	s_ashr_i32 s38, s11, 31
	s_add_u32 s2, s10, s38
	s_mov_b32 s39, s38
	s_addc_u32 s3, s11, s38
	s_xor_b64 s[40:41], s[2:3], s[38:39]
	v_readfirstlane_b32 s9, v2
	s_mul_i32 s3, s40, s1
	s_mul_hi_u32 s13, s40, s9
	s_mul_hi_u32 s2, s40, s1
	s_add_u32 s3, s13, s3
	s_addc_u32 s2, 0, s2
	s_mul_hi_u32 s33, s41, s9
	s_mul_i32 s9, s41, s9
	s_add_u32 s3, s3, s9
	s_mul_hi_u32 s13, s41, s1
	s_addc_u32 s2, s2, s33
	s_addc_u32 s3, s13, 0
	s_mul_i32 s1, s41, s1
	s_add_u32 s1, s2, s1
	s_addc_u32 s9, 0, s3
	s_mul_i32 s2, s36, s9
	s_mul_hi_u32 s3, s36, s1
	s_add_i32 s2, s3, s2
	s_mul_i32 s3, s37, s1
	s_add_i32 s13, s2, s3
	s_mul_i32 s3, s36, s1
	v_mov_b32_e32 v2, s3
	s_sub_i32 s2, s41, s13
	v_sub_co_u32_e32 v2, vcc, s40, v2
	s_cmp_lg_u64 vcc, 0
	s_subb_u32 s33, s2, s37
	v_subrev_co_u32_e64 v3, s[2:3], s36, v2
	s_cmp_lg_u64 s[2:3], 0
	s_subb_u32 s2, s33, 0
	s_cmp_ge_u32 s2, s37
	v_readfirstlane_b32 s33, v3
	s_cselect_b32 s3, -1, 0
	s_cmp_ge_u32 s33, s36
	s_cselect_b32 s33, -1, 0
	s_cmp_eq_u32 s2, s37
	s_cselect_b32 s2, s33, s3
	s_add_u32 s3, s1, 1
	s_addc_u32 s33, s9, 0
	s_add_u32 s40, s1, 2
	s_addc_u32 s42, s9, 0
	s_cmp_lg_u32 s2, 0
	s_cselect_b32 s2, s40, s3
	s_cselect_b32 s3, s42, s33
	s_cmp_lg_u64 vcc, 0
	s_subb_u32 s13, s41, s13
	s_cmp_ge_u32 s13, s37
	v_readfirstlane_b32 s40, v2
	s_cselect_b32 s33, -1, 0
	s_cmp_ge_u32 s40, s36
	s_cselect_b32 s36, -1, 0
	s_cmp_eq_u32 s13, s37
	s_cselect_b32 s13, s36, s33
	s_cmp_lg_u32 s13, 0
	s_cselect_b32 s3, s3, s9
	s_cselect_b32 s2, s2, s1
	s_xor_b64 s[34:35], s[38:39], s[34:35]
	s_xor_b64 s[2:3], s[2:3], s[34:35]
	s_sub_u32 s34, s2, s34
	s_subb_u32 s35, s3, s35
	s_load_dwordx2 s[26:27], s[26:27], 0x0
	s_cbranch_execnz .LBB1_6
.LBB1_5:
	v_rcp_iflag_f32_e32 v1, v1
	s_sub_i32 s1, 0, s12
	s_mov_b32 s35, 0
	v_mul_f32_e32 v1, 0x4f7ffffe, v1
	v_cvt_u32_f32_e32 v1, v1
	v_readfirstlane_b32 s2, v1
	s_mul_i32 s1, s1, s2
	s_mul_hi_u32 s1, s2, s1
	s_add_i32 s2, s2, s1
	s_mul_hi_u32 s1, s10, s2
	s_mul_i32 s3, s1, s12
	s_sub_i32 s3, s10, s3
	s_add_i32 s2, s1, 1
	s_sub_i32 s9, s3, s12
	s_cmp_ge_u32 s3, s12
	s_cselect_b32 s1, s2, s1
	s_cselect_b32 s3, s9, s3
	s_add_i32 s2, s1, 1
	s_cmp_ge_u32 s3, s12
	s_cselect_b32 s34, s2, s1
.LBB1_6:
	s_waitcnt lgkmcnt(0)
	s_mul_i32 s1, s29, s8
	s_mul_hi_u32 s2, s28, s8
	s_add_i32 s37, s2, s1
	s_mul_i32 s38, s28, s8
	s_add_u32 s1, s4, s38
	s_addc_u32 s2, s5, s37
	s_add_u32 s31, s1, s16
	s_addc_u32 s36, s2, s17
	s_mul_i32 s1, s8, s21
	s_mul_hi_u32 s2, s8, s20
	s_add_i32 s39, s2, s1
	s_mul_i32 s40, s8, s20
	s_add_u32 s1, s14, s40
	s_mul_i32 s3, s0, s23
	s_mul_hi_u32 s8, s0, s22
	s_addc_u32 s2, s15, s39
	s_add_i32 s41, s8, s3
	s_mul_i32 s42, s0, s22
	s_add_u32 s0, s1, s42
	s_addc_u32 s1, s2, s41
	s_add_u32 s30, s0, s18
	s_addc_u32 s33, s1, s19
	s_sub_u32 s0, s6, s24
	s_subb_u32 s1, 0, s25
	s_lshl_b64 s[2:3], s[26:27], 7
	s_lshl_b64 s[0:1], s[0:1], 7
	v_add_co_u32_e32 v2, vcc, s0, v0
	s_sub_u32 s0, s28, s16
	v_mov_b32_e32 v1, s1
	s_subb_u32 s1, s29, s17
	v_cmp_gt_i64_e64 s[8:9], s[0:1], 0
	s_and_b64 s[8:9], s[8:9], exec
	s_cselect_b32 s8, s1, 0
	s_cselect_b32 s12, s0, 0
	v_addc_co_u32_e32 v3, vcc, 0, v1, vcc
	v_mov_b32_e32 v4, s12
	v_mov_b32_e32 v5, s8
	v_cmp_lt_i64_e32 vcc, s[34:35], v[4:5]
	v_pk_mov_b32 v[4:5], s[2:3], s[2:3] op_sel:[0,1]
	s_and_b64 s[0:1], vcc, exec
	v_cmp_ge_i64_e32 vcc, s[10:11], v[4:5]
	s_cselect_b32 s9, s35, s8
	s_cselect_b32 s8, s34, s12
	s_mov_b64 s[0:1], -1
	s_cbranch_vccz .LBB1_20
; %bb.7:
	s_add_u32 s0, s30, 15
	s_addc_u32 s1, s33, 0
	s_ashr_i32 s12, s1, 31
	s_lshr_b32 s12, s12, 28
	s_add_u32 s0, s0, s12
	s_addc_u32 s28, s1, 0
	s_and_b32 s29, s0, -16
	s_sub_u32 s0, s29, s30
	s_subb_u32 s1, s28, s33
	s_sub_u32 s12, s8, s0
	s_subb_u32 s13, s9, s1
	s_ashr_i32 s20, s13, 31
	s_lshr_b32 s20, s20, 28
	s_add_u32 s12, s12, s20
	s_addc_u32 s21, s13, 0
	s_and_b32 s20, s12, -16
	s_add_u32 s12, s20, s0
	v_lshlrev_b64 v[6:7], 4, v[2:3]
	s_addc_u32 s13, s21, s1
	v_cmp_gt_i64_e32 vcc, s[20:21], v[6:7]
	s_and_saveexec_b64 s[20:21], vcc
	s_cbranch_execz .LBB1_10
; %bb.8:
	s_lshl_b64 s[22:23], s[26:27], 11
	s_add_u32 s18, s18, s42
	s_addc_u32 s19, s19, s41
	s_add_u32 s18, s18, s40
	s_addc_u32 s19, s19, s39
	s_lshl_b64 s[6:7], s[6:7], 11
	s_add_u32 s6, s18, s6
	s_addc_u32 s7, s19, s7
	v_mov_b32_e32 v1, s1
	v_add_co_u32_e32 v4, vcc, s0, v6
	s_add_u32 s6, s6, s29
	v_addc_co_u32_e32 v5, vcc, v1, v7, vcc
	s_addc_u32 s7, s7, s28
	v_lshlrev_b32_e32 v0, 4, v0
	v_mov_b32_e32 v1, s7
	v_add_co_u32_e32 v0, vcc, s6, v0
	v_addc_co_u32_e32 v1, vcc, 0, v1, vcc
	v_mov_b32_e32 v8, s33
	v_subrev_co_u32_e32 v0, vcc, s30, v0
	v_subb_co_u32_e32 v1, vcc, v1, v8, vcc
	s_lshl_b64 s[6:7], s[24:25], 11
	v_mov_b32_e32 v8, s7
	v_subrev_co_u32_e32 v0, vcc, s6, v0
	s_add_u32 s6, s16, s38
	v_subb_co_u32_e32 v1, vcc, v1, v8, vcc
	s_addc_u32 s7, s17, s37
	v_mov_b32_e32 v8, s15
	v_add_co_u32_e32 v0, vcc, s14, v0
	s_add_u32 s6, s6, s29
	v_addc_co_u32_e32 v1, vcc, v8, v1, vcc
	s_addc_u32 s7, s7, s28
	v_mov_b32_e32 v8, s7
	v_add_co_u32_e32 v6, vcc, s6, v6
	v_addc_co_u32_e32 v7, vcc, v8, v7, vcc
	v_mov_b32_e32 v8, s33
	v_subrev_co_u32_e32 v6, vcc, s30, v6
	v_subb_co_u32_e32 v7, vcc, v7, v8, vcc
	v_mov_b32_e32 v8, s5
	v_add_co_u32_e32 v6, vcc, s4, v6
	v_addc_co_u32_e32 v7, vcc, v7, v8, vcc
	v_add_co_u32_e32 v6, vcc, 8, v6
	v_addc_co_u32_e32 v7, vcc, 0, v7, vcc
	s_mov_b64 s[4:5], 0
	v_mov_b32_e32 v8, s23
	s_mov_b64 s[6:7], 0
.LBB1_9:                                ; =>This Inner Loop Header: Depth=1
	v_mov_b32_e32 v9, s7
	v_add_co_u32_e32 v10, vcc, s6, v6
	v_addc_co_u32_e32 v11, vcc, v7, v9, vcc
	global_load_dwordx4 v[10:13], v[10:11], off offset:-8
	v_add_co_u32_e32 v4, vcc, s22, v4
	v_addc_co_u32_e32 v5, vcc, v5, v8, vcc
	v_add_co_u32_e32 v14, vcc, s6, v0
	s_add_u32 s6, s6, s22
	v_addc_co_u32_e32 v15, vcc, v1, v9, vcc
	s_addc_u32 s7, s7, s23
	v_cmp_le_i64_e32 vcc, s[12:13], v[4:5]
	s_or_b64 s[4:5], vcc, s[4:5]
	s_waitcnt vmcnt(0)
	global_store_dwordx4 v[14:15], v[10:13], off
	s_andn2_b64 exec, exec, s[4:5]
	s_cbranch_execnz .LBB1_9
.LBB1_10:
	s_or_b64 exec, exec, s[20:21]
	v_cmp_gt_i64_e32 vcc, s[0:1], v[2:3]
	v_cmp_gt_i64_e64 s[0:1], s[10:11], v[2:3]
	s_and_b64 s[4:5], s[0:1], vcc
	s_and_saveexec_b64 s[0:1], s[4:5]
	s_cbranch_execz .LBB1_14
; %bb.11:
	v_cmp_gt_i64_e32 vcc, s[8:9], v[2:3]
	v_mov_b32_e32 v0, 0
	s_and_saveexec_b64 s[4:5], vcc
	s_cbranch_execz .LBB1_13
; %bb.12:
	v_mov_b32_e32 v1, s36
	v_add_co_u32_e32 v0, vcc, s31, v2
	v_addc_co_u32_e32 v1, vcc, v1, v3, vcc
	global_load_ubyte v0, v[0:1], off
.LBB1_13:
	s_or_b64 exec, exec, s[4:5]
	v_mov_b32_e32 v1, s33
	v_add_co_u32_e32 v4, vcc, s30, v2
	v_addc_co_u32_e32 v5, vcc, v1, v3, vcc
	s_waitcnt vmcnt(0)
	global_store_byte v[4:5], v0, off
.LBB1_14:
	s_or_b64 exec, exec, s[0:1]
	v_mov_b32_e32 v1, s13
	v_add_co_u32_e32 v0, vcc, s12, v2
	v_addc_co_u32_e32 v1, vcc, v1, v3, vcc
	v_cmp_gt_i64_e32 vcc, s[10:11], v[0:1]
	s_and_saveexec_b64 s[0:1], vcc
	s_cbranch_execz .LBB1_19
; %bb.15:
	s_mov_b64 s[4:5], 0
	v_mov_b32_e32 v4, s33
	s_branch .LBB1_17
.LBB1_16:                               ;   in Loop: Header=BB1_17 Depth=1
	s_or_b64 exec, exec, s[6:7]
	v_add_co_u32_e32 v6, vcc, s30, v0
	s_add_u32 s12, s12, s2
	v_addc_co_u32_e32 v7, vcc, v4, v1, vcc
	s_addc_u32 s13, s13, s3
	v_mov_b32_e32 v1, s13
	v_add_co_u32_e32 v0, vcc, s12, v2
	v_addc_co_u32_e32 v1, vcc, v1, v3, vcc
	v_cmp_le_i64_e32 vcc, s[10:11], v[0:1]
	s_or_b64 s[4:5], vcc, s[4:5]
	s_waitcnt vmcnt(0)
	global_store_byte v[6:7], v5, off
	s_andn2_b64 exec, exec, s[4:5]
	s_cbranch_execz .LBB1_19
.LBB1_17:                               ; =>This Inner Loop Header: Depth=1
	v_cmp_gt_i64_e32 vcc, s[8:9], v[0:1]
	v_mov_b32_e32 v5, 0
	s_and_saveexec_b64 s[6:7], vcc
	s_cbranch_execz .LBB1_16
; %bb.18:                               ;   in Loop: Header=BB1_17 Depth=1
	v_mov_b32_e32 v5, s36
	v_add_co_u32_e32 v6, vcc, s31, v0
	v_addc_co_u32_e32 v7, vcc, v5, v1, vcc
	global_load_ubyte v5, v[6:7], off
	s_branch .LBB1_16
.LBB1_19:
	s_or_b64 exec, exec, s[0:1]
	s_mov_b64 s[0:1], 0
.LBB1_20:
	s_and_b64 vcc, exec, s[0:1]
	s_cbranch_vccz .LBB1_25
; %bb.21:
	v_cmp_gt_i64_e32 vcc, s[8:9], v[2:3]
	v_mov_b32_e32 v0, 0
	s_and_saveexec_b64 s[0:1], vcc
	s_cbranch_execz .LBB1_23
; %bb.22:
	v_mov_b32_e32 v1, s36
	v_add_co_u32_e32 v0, vcc, s31, v2
	v_addc_co_u32_e32 v1, vcc, v1, v3, vcc
	global_load_ubyte v0, v[0:1], off
.LBB1_23:
	s_or_b64 exec, exec, s[0:1]
	v_cmp_gt_i64_e32 vcc, s[10:11], v[2:3]
	s_and_saveexec_b64 s[0:1], vcc
	s_cbranch_execz .LBB1_25
; %bb.24:
	v_mov_b32_e32 v1, s33
	v_add_co_u32_e32 v2, vcc, s30, v2
	v_addc_co_u32_e32 v3, vcc, v1, v3, vcc
	s_waitcnt vmcnt(0)
	global_store_byte v[2:3], v0, off
.LBB1_25:
	s_endpgm
.LBB1_26:
                                        ; implicit-def: $sgpr16_sgpr17
	s_load_dwordx4 s[20:23], s[4:5], 0x40
	v_cvt_f32_u32_e32 v1, s12
	s_branch .LBB1_2
.LBB1_27:
                                        ; implicit-def: $sgpr34_sgpr35
	s_load_dwordx2 s[26:27], s[26:27], 0x0
	s_branch .LBB1_5
	.section	.rodata,"a",@progbits
	.p2align	6, 0x0
	.amdhsa_kernel _ZN2at6native6detailL21chunk_cat_cuda_kernelIccEEvPPT0_PT_PlS8_S8_S8_S8_S8_lll
		.amdhsa_group_segment_fixed_size 0
		.amdhsa_private_segment_fixed_size 0
		.amdhsa_kernarg_size 88
		.amdhsa_user_sgpr_count 6
		.amdhsa_user_sgpr_private_segment_buffer 1
		.amdhsa_user_sgpr_dispatch_ptr 0
		.amdhsa_user_sgpr_queue_ptr 0
		.amdhsa_user_sgpr_kernarg_segment_ptr 1
		.amdhsa_user_sgpr_dispatch_id 0
		.amdhsa_user_sgpr_flat_scratch_init 0
		.amdhsa_user_sgpr_kernarg_preload_length 0
		.amdhsa_user_sgpr_kernarg_preload_offset 0
		.amdhsa_user_sgpr_private_segment_size 0
		.amdhsa_uses_dynamic_stack 0
		.amdhsa_system_sgpr_private_segment_wavefront_offset 0
		.amdhsa_system_sgpr_workgroup_id_x 1
		.amdhsa_system_sgpr_workgroup_id_y 1
		.amdhsa_system_sgpr_workgroup_id_z 1
		.amdhsa_system_sgpr_workgroup_info 0
		.amdhsa_system_vgpr_workitem_id 0
		.amdhsa_next_free_vgpr 16
		.amdhsa_next_free_sgpr 43
		.amdhsa_accum_offset 16
		.amdhsa_reserve_vcc 1
		.amdhsa_reserve_flat_scratch 0
		.amdhsa_float_round_mode_32 0
		.amdhsa_float_round_mode_16_64 0
		.amdhsa_float_denorm_mode_32 3
		.amdhsa_float_denorm_mode_16_64 3
		.amdhsa_dx10_clamp 1
		.amdhsa_ieee_mode 1
		.amdhsa_fp16_overflow 0
		.amdhsa_tg_split 0
		.amdhsa_exception_fp_ieee_invalid_op 0
		.amdhsa_exception_fp_denorm_src 0
		.amdhsa_exception_fp_ieee_div_zero 0
		.amdhsa_exception_fp_ieee_overflow 0
		.amdhsa_exception_fp_ieee_underflow 0
		.amdhsa_exception_fp_ieee_inexact 0
		.amdhsa_exception_int_div_zero 0
	.end_amdhsa_kernel
	.section	.text._ZN2at6native6detailL21chunk_cat_cuda_kernelIccEEvPPT0_PT_PlS8_S8_S8_S8_S8_lll,"axG",@progbits,_ZN2at6native6detailL21chunk_cat_cuda_kernelIccEEvPPT0_PT_PlS8_S8_S8_S8_S8_lll,comdat
.Lfunc_end1:
	.size	_ZN2at6native6detailL21chunk_cat_cuda_kernelIccEEvPPT0_PT_PlS8_S8_S8_S8_S8_lll, .Lfunc_end1-_ZN2at6native6detailL21chunk_cat_cuda_kernelIccEEvPPT0_PT_PlS8_S8_S8_S8_S8_lll
                                        ; -- End function
	.section	.AMDGPU.csdata,"",@progbits
; Kernel info:
; codeLenInByte = 2380
; NumSgprs: 47
; NumVgprs: 16
; NumAgprs: 0
; TotalNumVgprs: 16
; ScratchSize: 0
; MemoryBound: 0
; FloatMode: 240
; IeeeMode: 1
; LDSByteSize: 0 bytes/workgroup (compile time only)
; SGPRBlocks: 5
; VGPRBlocks: 1
; NumSGPRsForWavesPerEU: 47
; NumVGPRsForWavesPerEU: 16
; AccumOffset: 16
; Occupancy: 8
; WaveLimiterHint : 1
; COMPUTE_PGM_RSRC2:SCRATCH_EN: 0
; COMPUTE_PGM_RSRC2:USER_SGPR: 6
; COMPUTE_PGM_RSRC2:TRAP_HANDLER: 0
; COMPUTE_PGM_RSRC2:TGID_X_EN: 1
; COMPUTE_PGM_RSRC2:TGID_Y_EN: 1
; COMPUTE_PGM_RSRC2:TGID_Z_EN: 1
; COMPUTE_PGM_RSRC2:TIDIG_COMP_CNT: 0
; COMPUTE_PGM_RSRC3_GFX90A:ACCUM_OFFSET: 3
; COMPUTE_PGM_RSRC3_GFX90A:TG_SPLIT: 0
	.section	.text._ZN2at6native6detailL21chunk_cat_cuda_kernelIfN3c108BFloat16EEEvPPT0_PT_PlSA_SA_SA_SA_SA_lll,"axG",@progbits,_ZN2at6native6detailL21chunk_cat_cuda_kernelIfN3c108BFloat16EEEvPPT0_PT_PlSA_SA_SA_SA_SA_lll,comdat
	.globl	_ZN2at6native6detailL21chunk_cat_cuda_kernelIfN3c108BFloat16EEEvPPT0_PT_PlSA_SA_SA_SA_SA_lll ; -- Begin function _ZN2at6native6detailL21chunk_cat_cuda_kernelIfN3c108BFloat16EEEvPPT0_PT_PlSA_SA_SA_SA_SA_lll
	.p2align	8
	.type	_ZN2at6native6detailL21chunk_cat_cuda_kernelIfN3c108BFloat16EEEvPPT0_PT_PlSA_SA_SA_SA_SA_lll,@function
_ZN2at6native6detailL21chunk_cat_cuda_kernelIfN3c108BFloat16EEEvPPT0_PT_PlSA_SA_SA_SA_SA_lll: ; @_ZN2at6native6detailL21chunk_cat_cuda_kernelIfN3c108BFloat16EEEvPPT0_PT_PlSA_SA_SA_SA_SA_lll
; %bb.0:
	s_load_dwordx16 s[12:27], s[4:5], 0x0
	s_mov_b32 s0, s7
	s_mov_b32 s7, 0
	s_lshl_b64 s[2:3], s[6:7], 3
	s_waitcnt lgkmcnt(0)
	s_add_u32 s2, s16, s2
	s_addc_u32 s3, s17, s3
	s_load_dwordx2 s[2:3], s[2:3], 0x0
	s_waitcnt lgkmcnt(0)
	s_lshl_b64 s[34:35], s[2:3], 3
	s_add_u32 s36, s20, s34
	s_addc_u32 s37, s21, s35
	s_add_u32 s30, s26, s34
	s_addc_u32 s31, s27, s35
	;; [unrolled: 2-line block ×5, first 2 shown]
	s_load_dwordx2 s[10:11], s[2:3], 0x0
	s_load_dwordx2 s[16:17], s[4:5], 0x50
	s_waitcnt lgkmcnt(0)
	s_mul_i32 s1, s11, s0
	s_mul_hi_u32 s2, s10, s0
	s_add_i32 s25, s2, s1
	s_mul_i32 s24, s10, s0
	s_or_b64 s[2:3], s[24:25], s[16:17]
	s_mov_b32 s2, s7
	s_cmp_lg_u64 s[2:3], 0
	s_cbranch_scc0 .LBB2_26
; %bb.1:
	s_ashr_i32 s12, s17, 31
	s_add_u32 s2, s16, s12
	s_mov_b32 s13, s12
	s_addc_u32 s3, s17, s12
	s_xor_b64 s[20:21], s[2:3], s[12:13]
	v_cvt_f32_u32_e32 v1, s20
	v_cvt_f32_u32_e32 v2, s21
	s_sub_u32 s1, 0, s20
	s_subb_u32 s2, 0, s21
	v_madmk_f32 v1, v2, 0x4f800000, v1
	v_rcp_f32_e32 v1, v1
	v_mul_f32_e32 v1, 0x5f7ffffc, v1
	v_mul_f32_e32 v2, 0x2f800000, v1
	v_trunc_f32_e32 v2, v2
	v_madmk_f32 v1, v2, 0xcf800000, v1
	v_cvt_u32_f32_e32 v2, v2
	v_cvt_u32_f32_e32 v1, v1
	v_readfirstlane_b32 s3, v2
	v_readfirstlane_b32 s9, v1
	s_mul_i32 s22, s1, s3
	s_mul_hi_u32 s33, s1, s9
	s_mul_i32 s23, s2, s9
	s_add_i32 s22, s33, s22
	s_add_i32 s22, s22, s23
	s_mul_i32 s40, s1, s9
	s_mul_hi_u32 s23, s9, s22
	s_mul_i32 s33, s9, s22
	s_mul_hi_u32 s9, s9, s40
	s_add_u32 s9, s9, s33
	s_addc_u32 s23, 0, s23
	s_mul_hi_u32 s41, s3, s40
	s_mul_i32 s40, s3, s40
	s_add_u32 s9, s9, s40
	s_mul_hi_u32 s33, s3, s22
	s_addc_u32 s9, s23, s41
	s_addc_u32 s23, s33, 0
	s_mul_i32 s22, s3, s22
	s_add_u32 s9, s9, s22
	s_addc_u32 s22, 0, s23
	v_add_co_u32_e32 v1, vcc, s9, v1
	s_cmp_lg_u64 vcc, 0
	s_addc_u32 s3, s3, s22
	v_readfirstlane_b32 s22, v1
	s_mul_i32 s9, s1, s3
	s_mul_hi_u32 s23, s1, s22
	s_add_i32 s9, s23, s9
	s_mul_i32 s2, s2, s22
	s_add_i32 s9, s9, s2
	s_mul_i32 s1, s1, s22
	s_mul_hi_u32 s23, s3, s1
	s_mul_i32 s33, s3, s1
	s_mul_i32 s41, s22, s9
	s_mul_hi_u32 s1, s22, s1
	s_mul_hi_u32 s40, s22, s9
	s_add_u32 s1, s1, s41
	s_addc_u32 s22, 0, s40
	s_add_u32 s1, s1, s33
	s_mul_hi_u32 s2, s3, s9
	s_addc_u32 s1, s22, s23
	s_addc_u32 s2, s2, 0
	s_mul_i32 s9, s3, s9
	s_add_u32 s1, s1, s9
	s_addc_u32 s2, 0, s2
	v_add_co_u32_e32 v1, vcc, s1, v1
	s_cmp_lg_u64 vcc, 0
	s_addc_u32 s1, s3, s2
	s_ashr_i32 s22, s25, 31
	s_add_u32 s2, s24, s22
	s_mov_b32 s23, s22
	s_addc_u32 s3, s25, s22
	s_xor_b64 s[40:41], s[2:3], s[22:23]
	v_readfirstlane_b32 s9, v1
	s_mul_i32 s3, s40, s1
	s_mul_hi_u32 s25, s40, s9
	s_mul_hi_u32 s2, s40, s1
	s_add_u32 s3, s25, s3
	s_addc_u32 s2, 0, s2
	s_mul_hi_u32 s33, s41, s9
	s_mul_i32 s9, s41, s9
	s_add_u32 s3, s3, s9
	s_mul_hi_u32 s25, s41, s1
	s_addc_u32 s2, s2, s33
	s_addc_u32 s3, s25, 0
	s_mul_i32 s1, s41, s1
	s_add_u32 s1, s2, s1
	s_addc_u32 s9, 0, s3
	s_mul_i32 s2, s20, s9
	s_mul_hi_u32 s3, s20, s1
	s_add_i32 s2, s3, s2
	s_mul_i32 s3, s21, s1
	s_add_i32 s25, s2, s3
	s_mul_i32 s3, s20, s1
	v_mov_b32_e32 v1, s3
	s_sub_i32 s2, s41, s25
	v_sub_co_u32_e32 v1, vcc, s40, v1
	s_cmp_lg_u64 vcc, 0
	s_subb_u32 s33, s2, s21
	v_subrev_co_u32_e64 v2, s[2:3], s20, v1
	s_cmp_lg_u64 s[2:3], 0
	s_subb_u32 s2, s33, 0
	s_cmp_ge_u32 s2, s21
	v_readfirstlane_b32 s33, v2
	s_cselect_b32 s3, -1, 0
	s_cmp_ge_u32 s33, s20
	s_cselect_b32 s33, -1, 0
	s_cmp_eq_u32 s2, s21
	s_cselect_b32 s2, s33, s3
	s_add_u32 s3, s1, 1
	s_addc_u32 s33, s9, 0
	s_add_u32 s40, s1, 2
	s_addc_u32 s42, s9, 0
	s_cmp_lg_u32 s2, 0
	s_cselect_b32 s2, s40, s3
	s_cselect_b32 s3, s42, s33
	s_cmp_lg_u64 vcc, 0
	s_subb_u32 s25, s41, s25
	s_cmp_ge_u32 s25, s21
	v_readfirstlane_b32 s40, v1
	s_cselect_b32 s33, -1, 0
	s_cmp_ge_u32 s40, s20
	s_cselect_b32 s20, -1, 0
	s_cmp_eq_u32 s25, s21
	s_cselect_b32 s20, s20, s33
	s_cmp_lg_u32 s20, 0
	s_cselect_b32 s3, s3, s9
	s_cselect_b32 s2, s2, s1
	s_xor_b64 s[12:13], s[22:23], s[12:13]
	s_xor_b64 s[2:3], s[2:3], s[12:13]
	s_sub_u32 s12, s2, s12
	s_subb_u32 s13, s3, s13
	s_load_dwordx4 s[20:23], s[4:5], 0x40
	v_cvt_f32_u32_e32 v1, s16
	s_cbranch_execnz .LBB2_3
.LBB2_2:
	v_rcp_iflag_f32_e32 v2, v1
	s_sub_i32 s1, 0, s16
	s_mov_b32 s13, 0
	v_mul_f32_e32 v2, 0x4f7ffffe, v2
	v_cvt_u32_f32_e32 v2, v2
	v_readfirstlane_b32 s2, v2
	s_mul_i32 s1, s1, s2
	s_mul_hi_u32 s1, s2, s1
	s_add_i32 s2, s2, s1
	s_mul_hi_u32 s1, s24, s2
	s_mul_i32 s3, s1, s16
	s_sub_i32 s3, s24, s3
	s_add_i32 s2, s1, 1
	s_sub_i32 s4, s3, s16
	s_cmp_ge_u32 s3, s16
	s_cselect_b32 s1, s2, s1
	s_cselect_b32 s3, s4, s3
	s_add_i32 s2, s1, 1
	s_cmp_ge_u32 s3, s16
	s_cselect_b32 s12, s2, s1
.LBB2_3:
	s_load_dwordx2 s[24:25], s[36:37], 0x0
	s_load_dwordx2 s[28:29], s[38:39], 0x0
	s_add_u32 s18, s18, s34
	s_addc_u32 s19, s19, s35
	s_or_b64 s[2:3], s[10:11], s[16:17]
	s_mov_b32 s2, 0
	s_cmp_lg_u64 s[2:3], 0
	s_cbranch_scc0 .LBB2_27
; %bb.4:
	s_ashr_i32 s4, s17, 31
	s_add_u32 s2, s16, s4
	s_mov_b32 s5, s4
	s_addc_u32 s3, s17, s4
	s_xor_b64 s[36:37], s[2:3], s[4:5]
	v_cvt_f32_u32_e32 v2, s36
	v_cvt_f32_u32_e32 v3, s37
	s_sub_u32 s1, 0, s36
	s_subb_u32 s2, 0, s37
	v_madmk_f32 v2, v3, 0x4f800000, v2
	v_rcp_f32_e32 v2, v2
	v_mul_f32_e32 v2, 0x5f7ffffc, v2
	v_mul_f32_e32 v3, 0x2f800000, v2
	v_trunc_f32_e32 v3, v3
	v_madmk_f32 v2, v3, 0xcf800000, v2
	v_cvt_u32_f32_e32 v3, v3
	v_cvt_u32_f32_e32 v2, v2
	v_readfirstlane_b32 s3, v3
	v_readfirstlane_b32 s9, v2
	s_mul_i32 s17, s1, s3
	s_mul_hi_u32 s38, s1, s9
	s_mul_i32 s33, s2, s9
	s_add_i32 s17, s38, s17
	s_add_i32 s17, s17, s33
	s_mul_i32 s39, s1, s9
	s_mul_hi_u32 s33, s9, s17
	s_mul_i32 s38, s9, s17
	s_mul_hi_u32 s9, s9, s39
	s_add_u32 s9, s9, s38
	s_addc_u32 s33, 0, s33
	s_mul_hi_u32 s40, s3, s39
	s_mul_i32 s39, s3, s39
	s_add_u32 s9, s9, s39
	s_mul_hi_u32 s38, s3, s17
	s_addc_u32 s9, s33, s40
	s_addc_u32 s33, s38, 0
	s_mul_i32 s17, s3, s17
	s_add_u32 s9, s9, s17
	s_addc_u32 s17, 0, s33
	v_add_co_u32_e32 v2, vcc, s9, v2
	s_cmp_lg_u64 vcc, 0
	s_addc_u32 s3, s3, s17
	v_readfirstlane_b32 s17, v2
	s_mul_i32 s9, s1, s3
	s_mul_hi_u32 s33, s1, s17
	s_add_i32 s9, s33, s9
	s_mul_i32 s2, s2, s17
	s_add_i32 s9, s9, s2
	s_mul_i32 s1, s1, s17
	s_mul_hi_u32 s33, s3, s1
	s_mul_i32 s38, s3, s1
	s_mul_i32 s40, s17, s9
	s_mul_hi_u32 s1, s17, s1
	s_mul_hi_u32 s39, s17, s9
	s_add_u32 s1, s1, s40
	s_addc_u32 s17, 0, s39
	s_add_u32 s1, s1, s38
	s_mul_hi_u32 s2, s3, s9
	s_addc_u32 s1, s17, s33
	s_addc_u32 s2, s2, 0
	s_mul_i32 s9, s3, s9
	s_add_u32 s1, s1, s9
	s_addc_u32 s2, 0, s2
	v_add_co_u32_e32 v2, vcc, s1, v2
	s_cmp_lg_u64 vcc, 0
	s_addc_u32 s1, s3, s2
	s_ashr_i32 s38, s11, 31
	s_add_u32 s2, s10, s38
	s_mov_b32 s39, s38
	s_addc_u32 s3, s11, s38
	s_xor_b64 s[40:41], s[2:3], s[38:39]
	v_readfirstlane_b32 s9, v2
	s_mul_i32 s3, s40, s1
	s_mul_hi_u32 s17, s40, s9
	s_mul_hi_u32 s2, s40, s1
	s_add_u32 s3, s17, s3
	s_addc_u32 s2, 0, s2
	s_mul_hi_u32 s33, s41, s9
	s_mul_i32 s9, s41, s9
	s_add_u32 s3, s3, s9
	s_mul_hi_u32 s17, s41, s1
	s_addc_u32 s2, s2, s33
	s_addc_u32 s3, s17, 0
	s_mul_i32 s1, s41, s1
	s_add_u32 s1, s2, s1
	s_addc_u32 s9, 0, s3
	s_mul_i32 s2, s36, s9
	s_mul_hi_u32 s3, s36, s1
	s_add_i32 s2, s3, s2
	s_mul_i32 s3, s37, s1
	s_add_i32 s17, s2, s3
	s_mul_i32 s3, s36, s1
	v_mov_b32_e32 v2, s3
	s_sub_i32 s2, s41, s17
	v_sub_co_u32_e32 v2, vcc, s40, v2
	s_cmp_lg_u64 vcc, 0
	s_subb_u32 s33, s2, s37
	v_subrev_co_u32_e64 v3, s[2:3], s36, v2
	s_cmp_lg_u64 s[2:3], 0
	s_subb_u32 s33, s33, 0
	s_cmp_ge_u32 s33, s37
	s_cselect_b32 s40, -1, 0
	v_cmp_le_u32_e64 s[2:3], s36, v3
	s_cmp_eq_u32 s33, s37
	v_cndmask_b32_e64 v3, 0, -1, s[2:3]
	v_mov_b32_e32 v4, s40
	s_cselect_b64 s[2:3], -1, 0
	v_cndmask_b32_e64 v3, v4, v3, s[2:3]
	s_add_u32 s2, s1, 1
	s_addc_u32 s33, s9, 0
	s_add_u32 s3, s1, 2
	s_addc_u32 s40, s9, 0
	v_mov_b32_e32 v4, s2
	v_mov_b32_e32 v5, s3
	v_cmp_ne_u32_e64 s[2:3], 0, v3
	v_cndmask_b32_e64 v3, v4, v5, s[2:3]
	v_mov_b32_e32 v4, s33
	v_mov_b32_e32 v5, s40
	s_cmp_lg_u64 vcc, 0
	v_cndmask_b32_e64 v4, v4, v5, s[2:3]
	s_subb_u32 s2, s41, s17
	s_cmp_ge_u32 s2, s37
	s_cselect_b32 s3, -1, 0
	v_cmp_le_u32_e32 vcc, s36, v2
	s_cmp_eq_u32 s2, s37
	v_cndmask_b32_e64 v2, 0, -1, vcc
	v_mov_b32_e32 v5, s3
	s_cselect_b64 vcc, -1, 0
	v_cndmask_b32_e32 v2, v5, v2, vcc
	v_mov_b32_e32 v5, s9
	v_cmp_ne_u32_e32 vcc, 0, v2
	v_cndmask_b32_e32 v2, v5, v4, vcc
	v_mov_b32_e32 v4, s1
	v_cndmask_b32_e32 v3, v4, v3, vcc
	s_xor_b64 s[2:3], s[38:39], s[4:5]
	v_xor_b32_e32 v3, s2, v3
	v_xor_b32_e32 v2, s3, v2
	v_mov_b32_e32 v5, s3
	v_subrev_co_u32_e32 v4, vcc, s2, v3
	v_subb_co_u32_e32 v5, vcc, v2, v5, vcc
	s_load_dwordx2 s[2:3], s[30:31], 0x0
	s_load_dwordx2 s[4:5], s[18:19], 0x0
	s_cbranch_execnz .LBB2_6
.LBB2_5:
	v_rcp_iflag_f32_e32 v1, v1
	s_sub_i32 s1, 0, s16
	v_mov_b32_e32 v5, 0
	v_mul_f32_e32 v1, 0x4f7ffffe, v1
	v_cvt_u32_f32_e32 v1, v1
	v_mul_lo_u32 v2, s1, v1
	v_mul_hi_u32 v2, v1, v2
	v_add_u32_e32 v1, v1, v2
	v_mul_hi_u32 v1, s10, v1
	v_mul_lo_u32 v3, v1, s16
	v_sub_u32_e32 v3, s10, v3
	v_add_u32_e32 v2, 1, v1
	v_subrev_u32_e32 v4, s16, v3
	v_cmp_le_u32_e32 vcc, s16, v3
	v_cndmask_b32_e32 v3, v3, v4, vcc
	v_cndmask_b32_e32 v1, v1, v2, vcc
	v_add_u32_e32 v2, 1, v1
	v_cmp_le_u32_e32 vcc, s16, v3
	v_cndmask_b32_e32 v4, v1, v2, vcc
.LBB2_6:
	s_waitcnt lgkmcnt(0)
	s_mul_i32 s1, s8, s21
	s_mul_hi_u32 s30, s8, s20
	s_add_i32 s30, s30, s1
	s_mul_i32 s1, s0, s23
	s_mul_hi_u32 s33, s0, s22
	s_add_i32 s33, s33, s1
	s_mul_i32 s34, s0, s22
	s_sub_u32 s0, s6, s24
	s_subb_u32 s1, 0, s25
	s_lshl_b64 s[16:17], s[2:3], 7
	s_lshl_b64 s[0:1], s[0:1], 7
	v_add_co_u32_e32 v2, vcc, s0, v0
	s_sub_u32 s0, s28, s12
	v_mov_b32_e32 v1, s1
	s_subb_u32 s1, s29, s13
	v_cmp_gt_i64_e64 s[18:19], s[0:1], 0
	s_and_b64 s[18:19], s[18:19], exec
	v_addc_co_u32_e32 v3, vcc, 0, v1, vcc
	s_cselect_b32 s1, s1, 0
	s_cselect_b32 s0, s0, 0
	v_mov_b32_e32 v1, s1
	v_cmp_gt_i64_e32 vcc, s[0:1], v[4:5]
	v_cndmask_b32_e32 v5, v1, v5, vcc
	v_mov_b32_e32 v1, s0
	v_cndmask_b32_e32 v4, v1, v4, vcc
	v_lshrrev_b64 v[4:5], 1, v[4:5]
	s_mul_i32 s31, s8, s20
	v_mov_b32_e32 v8, 0
	v_cmp_gt_i64_e32 vcc, v[4:5], v[2:3]
	s_and_saveexec_b64 s[18:19], vcc
	s_cbranch_execz .LBB2_22
; %bb.7:
	s_add_u32 s0, s2, s6
	s_addc_u32 s1, s3, 0
	s_lshl_b64 s[0:1], s[0:1], 7
	v_mov_b32_e32 v1, s1
	v_add_co_u32_e32 v6, vcc, s0, v0
	v_addc_co_u32_e32 v1, vcc, 0, v1, vcc
	s_lshl_b64 s[0:1], s[24:25], 7
	v_mov_b32_e32 v7, s1
	v_subrev_co_u32_e32 v10, vcc, s0, v6
	v_subb_co_u32_e32 v11, vcc, v1, v7, vcc
	v_cmp_gt_i64_e32 vcc, v[4:5], v[10:11]
	v_cndmask_b32_e64 v6, 0, 1, vcc
	v_cndmask_b32_e32 v7, v11, v5, vcc
	v_cndmask_b32_e32 v1, v10, v4, vcc
	v_add_co_u32_e32 v9, vcc, v10, v6
	v_addc_co_u32_e32 v10, vcc, 0, v11, vcc
	v_sub_co_u32_e32 v1, vcc, v1, v9
	v_subb_co_u32_e32 v7, vcc, v7, v10, vcc
	v_or_b32_e32 v9, s17, v7
	v_cmp_ne_u64_e32 vcc, 0, v[8:9]
                                        ; implicit-def: $vgpr8_vgpr9
	s_and_saveexec_b64 s[0:1], vcc
	s_xor_b64 s[20:21], exec, s[0:1]
	s_cbranch_execz .LBB2_9
; %bb.8:
	v_cvt_f32_u32_e32 v8, s16
	v_cvt_f32_u32_e32 v9, s17
	s_sub_u32 s0, 0, s16
	s_subb_u32 s1, 0, s17
	v_madmk_f32 v8, v9, 0x4f800000, v8
	v_rcp_f32_e32 v8, v8
	v_mul_f32_e32 v8, 0x5f7ffffc, v8
	v_mul_f32_e32 v9, 0x2f800000, v8
	v_trunc_f32_e32 v9, v9
	v_madmk_f32 v8, v9, 0xcf800000, v8
	v_cvt_u32_f32_e32 v9, v9
	v_cvt_u32_f32_e32 v8, v8
	v_mul_lo_u32 v10, s0, v9
	v_mul_hi_u32 v12, s0, v8
	v_mul_lo_u32 v11, s1, v8
	v_add_u32_e32 v10, v12, v10
	v_mul_lo_u32 v13, s0, v8
	v_add_u32_e32 v10, v10, v11
	v_mul_hi_u32 v12, v8, v13
	v_mul_lo_u32 v14, v8, v10
	v_mul_hi_u32 v11, v8, v10
	v_add_co_u32_e32 v12, vcc, v12, v14
	v_addc_co_u32_e32 v11, vcc, 0, v11, vcc
	v_mul_hi_u32 v15, v9, v13
	v_mul_lo_u32 v13, v9, v13
	v_add_co_u32_e32 v12, vcc, v12, v13
	v_mul_hi_u32 v14, v9, v10
	v_addc_co_u32_e32 v11, vcc, v11, v15, vcc
	v_addc_co_u32_e32 v12, vcc, 0, v14, vcc
	v_mul_lo_u32 v10, v9, v10
	v_add_co_u32_e32 v10, vcc, v11, v10
	v_addc_co_u32_e32 v11, vcc, 0, v12, vcc
	v_add_co_u32_e32 v8, vcc, v8, v10
	v_addc_co_u32_e32 v9, vcc, v9, v11, vcc
	v_mul_lo_u32 v10, s0, v9
	v_mul_hi_u32 v11, s0, v8
	v_add_u32_e32 v10, v11, v10
	v_mul_lo_u32 v11, s1, v8
	v_add_u32_e32 v10, v10, v11
	v_mul_lo_u32 v12, s0, v8
	v_mul_hi_u32 v13, v9, v12
	v_mul_lo_u32 v14, v9, v12
	v_mul_lo_u32 v16, v8, v10
	v_mul_hi_u32 v12, v8, v12
	v_mul_hi_u32 v15, v8, v10
	v_add_co_u32_e32 v12, vcc, v12, v16
	v_addc_co_u32_e32 v15, vcc, 0, v15, vcc
	v_add_co_u32_e32 v12, vcc, v12, v14
	v_mul_hi_u32 v11, v9, v10
	v_addc_co_u32_e32 v12, vcc, v15, v13, vcc
	v_addc_co_u32_e32 v11, vcc, 0, v11, vcc
	v_mul_lo_u32 v10, v9, v10
	v_add_co_u32_e32 v10, vcc, v12, v10
	v_addc_co_u32_e32 v11, vcc, 0, v11, vcc
	v_add_co_u32_e32 v10, vcc, v8, v10
	v_addc_co_u32_e32 v11, vcc, v9, v11, vcc
	v_mad_u64_u32 v[8:9], s[0:1], v1, v11, 0
	v_mul_hi_u32 v12, v1, v10
	v_add_co_u32_e32 v12, vcc, v12, v8
	v_addc_co_u32_e32 v13, vcc, 0, v9, vcc
	v_mad_u64_u32 v[8:9], s[0:1], v7, v11, 0
	v_mad_u64_u32 v[10:11], s[0:1], v7, v10, 0
	v_add_co_u32_e32 v10, vcc, v12, v10
	v_addc_co_u32_e32 v10, vcc, v13, v11, vcc
	v_addc_co_u32_e32 v9, vcc, 0, v9, vcc
	v_add_co_u32_e32 v10, vcc, v10, v8
	v_addc_co_u32_e32 v11, vcc, 0, v9, vcc
	v_mul_lo_u32 v12, s17, v10
	v_mul_lo_u32 v13, s16, v11
	v_mad_u64_u32 v[8:9], s[0:1], s16, v10, 0
	v_add3_u32 v9, v9, v13, v12
	v_sub_u32_e32 v12, v7, v9
	v_mov_b32_e32 v13, s17
	v_sub_co_u32_e32 v1, vcc, v1, v8
	v_subb_co_u32_e64 v8, s[0:1], v12, v13, vcc
	v_subrev_co_u32_e64 v12, s[0:1], s16, v1
	v_subbrev_co_u32_e64 v8, s[0:1], 0, v8, s[0:1]
	v_cmp_le_u32_e64 s[0:1], s17, v8
	v_cndmask_b32_e64 v13, 0, -1, s[0:1]
	v_cmp_le_u32_e64 s[0:1], s16, v12
	v_cndmask_b32_e64 v12, 0, -1, s[0:1]
	v_cmp_eq_u32_e64 s[0:1], s17, v8
	v_cndmask_b32_e64 v8, v13, v12, s[0:1]
	v_add_co_u32_e64 v12, s[0:1], 2, v10
	v_subb_co_u32_e32 v7, vcc, v7, v9, vcc
	v_addc_co_u32_e64 v13, s[0:1], 0, v11, s[0:1]
	v_cmp_le_u32_e32 vcc, s17, v7
	v_add_co_u32_e64 v14, s[0:1], 1, v10
	v_cndmask_b32_e64 v9, 0, -1, vcc
	v_cmp_le_u32_e32 vcc, s16, v1
	v_addc_co_u32_e64 v15, s[0:1], 0, v11, s[0:1]
	v_cndmask_b32_e64 v1, 0, -1, vcc
	v_cmp_eq_u32_e32 vcc, s17, v7
	v_cmp_ne_u32_e64 s[0:1], 0, v8
	v_cndmask_b32_e32 v1, v9, v1, vcc
	v_cndmask_b32_e64 v8, v15, v13, s[0:1]
	v_cmp_ne_u32_e32 vcc, 0, v1
	v_cndmask_b32_e64 v1, v14, v12, s[0:1]
	v_cndmask_b32_e32 v9, v11, v8, vcc
	v_cndmask_b32_e32 v8, v10, v1, vcc
                                        ; implicit-def: $vgpr1
.LBB2_9:
	s_or_saveexec_b64 s[20:21], s[20:21]
	s_load_dwordx2 s[0:1], s[26:27], 0x0
	s_xor_b64 exec, exec, s[20:21]
	s_cbranch_execz .LBB2_11
; %bb.10:
	v_cvt_f32_u32_e32 v7, s16
	s_sub_i32 s9, 0, s16
	v_rcp_iflag_f32_e32 v7, v7
	v_mul_f32_e32 v7, 0x4f7ffffe, v7
	v_cvt_u32_f32_e32 v7, v7
	v_mul_lo_u32 v8, s9, v7
	v_mul_hi_u32 v8, v7, v8
	v_add_u32_e32 v7, v7, v8
	v_mul_hi_u32 v7, v1, v7
	v_mul_lo_u32 v8, v7, s16
	v_sub_u32_e32 v1, v1, v8
	v_add_u32_e32 v9, 1, v7
	v_subrev_u32_e32 v8, s16, v1
	v_cmp_le_u32_e32 vcc, s16, v1
	v_cndmask_b32_e32 v1, v1, v8, vcc
	v_cndmask_b32_e32 v7, v7, v9, vcc
	v_add_u32_e32 v8, 1, v7
	v_cmp_le_u32_e32 vcc, s16, v1
	v_cndmask_b32_e32 v8, v7, v8, vcc
	v_mov_b32_e32 v9, 0
.LBB2_11:
	s_or_b64 exec, exec, s[20:21]
	v_add_co_u32_e32 v1, vcc, v8, v6
	v_addc_co_u32_e32 v7, vcc, 0, v9, vcc
	v_add_co_u32_e32 v6, vcc, 1, v1
	s_mul_i32 s9, s29, s8
	s_mul_hi_u32 s35, s28, s8
	v_addc_co_u32_e32 v7, vcc, 0, v7, vcc
	s_add_i32 s35, s35, s9
	s_mul_i32 s36, s28, s8
	v_cmp_lt_u64_e32 vcc, 3, v[6:7]
	s_mov_b64 s[28:29], 0
                                        ; implicit-def: $sgpr22_sgpr23
                                        ; implicit-def: $sgpr26_sgpr27
                                        ; implicit-def: $sgpr20_sgpr21
	s_and_saveexec_b64 s[8:9], vcc
	s_xor_b64 s[8:9], exec, s[8:9]
	s_cbranch_execz .LBB2_15
; %bb.12:
	s_mul_i32 s20, s3, 0x300
	s_mul_hi_u32 s21, s2, 0x300
	s_add_i32 s21, s21, s20
	s_mul_i32 s20, s2, 0x300
	s_add_u32 s22, s12, s20
	s_addc_u32 s23, s13, s21
	s_lshl_b64 s[20:21], s[6:7], 8
	s_add_u32 s20, s22, s20
	s_addc_u32 s21, s23, s21
	v_lshlrev_b32_e32 v1, 1, v0
	v_mov_b32_e32 v10, s21
	v_add_co_u32_e32 v1, vcc, s20, v1
	v_addc_co_u32_e32 v10, vcc, 0, v10, vcc
	s_lshl_b64 s[20:21], s[24:25], 8
	v_mov_b32_e32 v11, s21
	v_subrev_co_u32_e32 v1, vcc, s20, v1
	s_lshl_b64 s[28:29], s[2:3], 10
	s_lshl_b64 s[20:21], s[2:3], 9
	s_add_u32 s22, s12, s20
	v_subb_co_u32_e32 v11, vcc, v10, v11, vcc
	s_addc_u32 s23, s13, s21
	s_waitcnt lgkmcnt(0)
	v_mov_b32_e32 v12, s1
	v_add_co_u32_e32 v10, vcc, s0, v1
	s_add_u32 s22, s0, s22
	v_addc_co_u32_e32 v1, vcc, v12, v11, vcc
	v_lshlrev_b64 v[16:17], 1, v[2:3]
	s_addc_u32 s23, s1, s23
	v_mov_b32_e32 v11, s23
	v_add_co_u32_e32 v12, vcc, s22, v16
	s_lshl_b64 s[22:23], s[2:3], 8
	s_add_u32 s26, s12, s22
	s_addc_u32 s27, s13, s23
	s_add_u32 s26, s0, s26
	v_addc_co_u32_e32 v11, vcc, v11, v17, vcc
	s_addc_u32 s27, s1, s27
	v_mov_b32_e32 v13, s27
	v_add_co_u32_e32 v14, vcc, s26, v16
	s_add_u32 s26, s0, s12
	v_addc_co_u32_e32 v13, vcc, v13, v17, vcc
	s_addc_u32 s27, s1, s13
	v_add_co_u32_e32 v16, vcc, s26, v16
	s_add_u32 s26, s4, s34
	s_mul_i32 s37, s3, 0x600
	s_mul_hi_u32 s38, s2, 0x600
	v_mov_b32_e32 v15, s27
	s_addc_u32 s27, s5, s33
	s_add_i32 s38, s38, s37
	s_mul_i32 s37, s2, 0x600
	s_add_u32 s37, s26, s37
	s_addc_u32 s38, s27, s38
	s_lshl_b64 s[6:7], s[6:7], 9
	s_add_u32 s6, s37, s6
	v_addc_co_u32_e32 v15, vcc, v15, v17, vcc
	s_addc_u32 s7, s38, s7
	v_lshlrev_b32_e32 v0, 2, v0
	v_mov_b32_e32 v17, s7
	v_add_co_u32_e32 v0, vcc, s6, v0
	v_addc_co_u32_e32 v17, vcc, 0, v17, vcc
	s_lshl_b64 s[6:7], s[24:25], 9
	v_mov_b32_e32 v18, s7
	v_subrev_co_u32_e32 v0, vcc, s6, v0
	s_lshl_b64 s[6:7], s[2:3], 11
	s_add_u32 s24, s26, s28
	v_subb_co_u32_e32 v17, vcc, v17, v18, vcc
	s_addc_u32 s25, s27, s29
	v_mov_b32_e32 v18, s15
	v_add_co_u32_e32 v0, vcc, s14, v0
	s_add_u32 s24, s14, s24
	v_addc_co_u32_e32 v17, vcc, v18, v17, vcc
	v_lshlrev_b64 v[22:23], 2, v[2:3]
	s_addc_u32 s25, s15, s25
	v_add_co_u32_e32 v18, vcc, s24, v22
	s_add_u32 s24, s26, s20
	v_mov_b32_e32 v19, s25
	s_addc_u32 s25, s27, s21
	s_add_u32 s24, s14, s24
	v_addc_co_u32_e32 v19, vcc, v19, v23, vcc
	s_addc_u32 s25, s15, s25
	v_mov_b32_e32 v21, s25
	v_add_co_u32_e32 v20, vcc, s24, v22
	s_add_u32 s24, s14, s26
	v_addc_co_u32_e32 v21, vcc, v21, v23, vcc
	s_addc_u32 s25, s15, s27
	v_and_b32_e32 v8, -4, v6
	v_mov_b32_e32 v9, v7
	v_mov_b32_e32 v24, s25
	v_add_co_u32_e32 v22, vcc, s24, v22
	v_addc_co_u32_e32 v23, vcc, v24, v23, vcc
	s_mov_b64 s[24:25], 0
	v_mov_b32_e32 v26, s35
	v_mov_b32_e32 v27, s30
	;; [unrolled: 1-line block ×4, first 2 shown]
	v_pk_mov_b32 v[24:25], v[8:9], v[8:9] op_sel:[0,1]
.LBB2_13:                               ; =>This Inner Loop Header: Depth=1
	v_add_co_u32_e32 v30, vcc, s36, v16
	v_addc_co_u32_e32 v31, vcc, v15, v26, vcc
	v_add_co_u32_e32 v32, vcc, s36, v14
	v_addc_co_u32_e32 v33, vcc, v13, v26, vcc
	;; [unrolled: 2-line block ×4, first 2 shown]
	global_load_ushort v38, v[32:33], off
	global_load_ushort v39, v[30:31], off
	;; [unrolled: 1-line block ×4, first 2 shown]
	v_add_co_u32_e32 v30, vcc, s31, v22
	v_addc_co_u32_e32 v31, vcc, v23, v27, vcc
	v_add_co_u32_e32 v32, vcc, s31, v20
	v_addc_co_u32_e32 v33, vcc, v21, v27, vcc
	;; [unrolled: 2-line block ×4, first 2 shown]
	v_add_co_u32_e32 v24, vcc, -4, v24
	v_addc_co_u32_e32 v25, vcc, -1, v25, vcc
	v_add_co_u32_e32 v10, vcc, s28, v10
	v_addc_co_u32_e32 v1, vcc, v1, v28, vcc
	v_add_co_u32_e32 v12, vcc, s28, v12
	v_addc_co_u32_e32 v11, vcc, v11, v28, vcc
	;; [unrolled: 2-line block ×8, first 2 shown]
	v_cmp_eq_u64_e32 vcc, 0, v[24:25]
	s_or_b64 s[24:25], vcc, s[24:25]
	s_waitcnt vmcnt(3)
	v_lshlrev_b32_e32 v38, 16, v38
	s_waitcnt vmcnt(2)
	v_lshlrev_b32_e32 v39, 16, v39
	;; [unrolled: 2-line block ×4, first 2 shown]
	global_store_dword v[30:31], v39, off
	global_store_dword v[32:33], v38, off
	;; [unrolled: 1-line block ×4, first 2 shown]
	s_andn2_b64 exec, exec, s[24:25]
	s_cbranch_execnz .LBB2_13
; %bb.14:
	s_or_b64 exec, exec, s[24:25]
	v_mad_u64_u32 v[2:3], s[6:7], v8, s16, v[2:3]
	v_mul_lo_u32 v0, v8, s17
	v_mul_lo_u32 v1, v9, s16
	v_cmp_ne_u64_e32 vcc, v[6:7], v[8:9]
	v_add3_u32 v3, v1, v3, v0
	s_and_b64 s[28:29], vcc, exec
.LBB2_15:
	s_or_saveexec_b64 s[6:7], s[8:9]
	v_pk_mov_b32 v[0:1], s[22:23], s[22:23] op_sel:[0,1]
	v_pk_mov_b32 v[10:11], s[26:27], s[26:27] op_sel:[0,1]
	;; [unrolled: 1-line block ×3, first 2 shown]
	s_xor_b64 exec, exec, s[6:7]
; %bb.16:
	s_lshl_b64 s[8:9], s[2:3], 8
	s_add_u32 s20, s4, s34
	s_addc_u32 s21, s5, s33
	s_lshl_b64 s[22:23], s[2:3], 9
	v_pk_mov_b32 v[0:1], s[8:9], s[8:9] op_sel:[0,1]
	v_pk_mov_b32 v[10:11], s[20:21], s[20:21] op_sel:[0,1]
	;; [unrolled: 1-line block ×3, first 2 shown]
	s_or_b64 s[28:29], s[28:29], exec
; %bb.17:
	s_or_b64 exec, exec, s[6:7]
	s_and_saveexec_b64 s[6:7], s[28:29]
	s_cbranch_execz .LBB2_21
; %bb.18:
	s_add_u32 s8, s12, s36
	s_addc_u32 s9, s13, s35
	s_waitcnt lgkmcnt(0)
	s_add_u32 s0, s0, s8
	v_lshlrev_b64 v[8:9], 1, v[2:3]
	s_addc_u32 s1, s1, s9
	v_mov_b32_e32 v12, s1
	v_add_co_u32_e32 v8, vcc, s0, v8
	v_addc_co_u32_e32 v9, vcc, v12, v9, vcc
	v_mov_b32_e32 v12, s30
	v_add_co_u32_e32 v13, vcc, s31, v10
	v_addc_co_u32_e32 v12, vcc, v11, v12, vcc
	v_lshlrev_b64 v[10:11], 2, v[2:3]
	v_add_co_u32_e32 v10, vcc, v13, v10
	v_addc_co_u32_e32 v11, vcc, v12, v11, vcc
	v_mov_b32_e32 v12, s15
	v_add_co_u32_e32 v10, vcc, s14, v10
	v_addc_co_u32_e32 v11, vcc, v12, v11, vcc
	s_mov_b64 s[0:1], 0
	v_mov_b32_e32 v12, s17
.LBB2_19:                               ; =>This Inner Loop Header: Depth=1
	global_load_ushort v13, v[8:9], off
	v_add_co_u32_e32 v2, vcc, s16, v2
	v_addc_co_u32_e32 v3, vcc, v3, v12, vcc
	v_add_co_u32_e32 v8, vcc, v8, v0
	v_addc_co_u32_e32 v9, vcc, v9, v1, vcc
	v_cmp_ge_i64_e32 vcc, v[2:3], v[4:5]
	s_or_b64 s[0:1], vcc, s[0:1]
	s_waitcnt vmcnt(0)
	v_lshlrev_b32_e32 v13, 16, v13
	global_store_dword v[10:11], v13, off
	v_add_co_u32_e32 v10, vcc, v10, v6
	v_addc_co_u32_e32 v11, vcc, v11, v7, vcc
	s_andn2_b64 exec, exec, s[0:1]
	s_cbranch_execnz .LBB2_19
; %bb.20:
	s_or_b64 exec, exec, s[0:1]
.LBB2_21:
	s_or_b64 exec, exec, s[6:7]
.LBB2_22:
	s_or_b64 exec, exec, s[18:19]
	s_lshr_b64 s[6:7], s[10:11], 2
	v_cmp_gt_i64_e32 vcc, s[6:7], v[2:3]
	s_waitcnt lgkmcnt(0)
	s_and_saveexec_b64 s[0:1], vcc
	s_cbranch_execz .LBB2_25
; %bb.23:
	s_add_u32 s0, s4, s34
	s_addc_u32 s1, s5, s33
	s_add_u32 s0, s0, s31
	s_addc_u32 s1, s1, s30
	s_add_u32 s0, s14, s0
	v_lshlrev_b64 v[0:1], 2, v[2:3]
	s_addc_u32 s1, s15, s1
	v_mov_b32_e32 v4, s1
	v_add_co_u32_e32 v0, vcc, s0, v0
	s_lshl_b64 s[2:3], s[2:3], 9
	v_addc_co_u32_e32 v1, vcc, v4, v1, vcc
	s_mov_b64 s[4:5], 0
	v_mov_b32_e32 v4, 0
	v_mov_b32_e32 v5, s17
	;; [unrolled: 1-line block ×3, first 2 shown]
.LBB2_24:                               ; =>This Inner Loop Header: Depth=1
	v_add_co_u32_e32 v2, vcc, s16, v2
	v_addc_co_u32_e32 v3, vcc, v3, v5, vcc
	global_store_dword v[0:1], v4, off
	v_add_co_u32_e32 v0, vcc, s2, v0
	v_cmp_le_i64_e64 s[0:1], s[6:7], v[2:3]
	s_or_b64 s[4:5], s[0:1], s[4:5]
	v_addc_co_u32_e32 v1, vcc, v1, v6, vcc
	s_andn2_b64 exec, exec, s[4:5]
	s_cbranch_execnz .LBB2_24
.LBB2_25:
	s_endpgm
.LBB2_26:
                                        ; implicit-def: $sgpr12_sgpr13
	s_load_dwordx4 s[20:23], s[4:5], 0x40
	v_cvt_f32_u32_e32 v1, s16
	s_branch .LBB2_2
.LBB2_27:
                                        ; implicit-def: $vgpr4_vgpr5
	s_load_dwordx2 s[2:3], s[30:31], 0x0
	s_load_dwordx2 s[4:5], s[18:19], 0x0
	s_branch .LBB2_5
	.section	.rodata,"a",@progbits
	.p2align	6, 0x0
	.amdhsa_kernel _ZN2at6native6detailL21chunk_cat_cuda_kernelIfN3c108BFloat16EEEvPPT0_PT_PlSA_SA_SA_SA_SA_lll
		.amdhsa_group_segment_fixed_size 0
		.amdhsa_private_segment_fixed_size 0
		.amdhsa_kernarg_size 88
		.amdhsa_user_sgpr_count 6
		.amdhsa_user_sgpr_private_segment_buffer 1
		.amdhsa_user_sgpr_dispatch_ptr 0
		.amdhsa_user_sgpr_queue_ptr 0
		.amdhsa_user_sgpr_kernarg_segment_ptr 1
		.amdhsa_user_sgpr_dispatch_id 0
		.amdhsa_user_sgpr_flat_scratch_init 0
		.amdhsa_user_sgpr_kernarg_preload_length 0
		.amdhsa_user_sgpr_kernarg_preload_offset 0
		.amdhsa_user_sgpr_private_segment_size 0
		.amdhsa_uses_dynamic_stack 0
		.amdhsa_system_sgpr_private_segment_wavefront_offset 0
		.amdhsa_system_sgpr_workgroup_id_x 1
		.amdhsa_system_sgpr_workgroup_id_y 1
		.amdhsa_system_sgpr_workgroup_id_z 1
		.amdhsa_system_sgpr_workgroup_info 0
		.amdhsa_system_vgpr_workitem_id 0
		.amdhsa_next_free_vgpr 42
		.amdhsa_next_free_sgpr 43
		.amdhsa_accum_offset 44
		.amdhsa_reserve_vcc 1
		.amdhsa_reserve_flat_scratch 0
		.amdhsa_float_round_mode_32 0
		.amdhsa_float_round_mode_16_64 0
		.amdhsa_float_denorm_mode_32 3
		.amdhsa_float_denorm_mode_16_64 3
		.amdhsa_dx10_clamp 1
		.amdhsa_ieee_mode 1
		.amdhsa_fp16_overflow 0
		.amdhsa_tg_split 0
		.amdhsa_exception_fp_ieee_invalid_op 0
		.amdhsa_exception_fp_denorm_src 0
		.amdhsa_exception_fp_ieee_div_zero 0
		.amdhsa_exception_fp_ieee_overflow 0
		.amdhsa_exception_fp_ieee_underflow 0
		.amdhsa_exception_fp_ieee_inexact 0
		.amdhsa_exception_int_div_zero 0
	.end_amdhsa_kernel
	.section	.text._ZN2at6native6detailL21chunk_cat_cuda_kernelIfN3c108BFloat16EEEvPPT0_PT_PlSA_SA_SA_SA_SA_lll,"axG",@progbits,_ZN2at6native6detailL21chunk_cat_cuda_kernelIfN3c108BFloat16EEEvPPT0_PT_PlSA_SA_SA_SA_SA_lll,comdat
.Lfunc_end2:
	.size	_ZN2at6native6detailL21chunk_cat_cuda_kernelIfN3c108BFloat16EEEvPPT0_PT_PlSA_SA_SA_SA_SA_lll, .Lfunc_end2-_ZN2at6native6detailL21chunk_cat_cuda_kernelIfN3c108BFloat16EEEvPPT0_PT_PlSA_SA_SA_SA_SA_lll
                                        ; -- End function
	.section	.AMDGPU.csdata,"",@progbits
; Kernel info:
; codeLenInByte = 3712
; NumSgprs: 47
; NumVgprs: 42
; NumAgprs: 0
; TotalNumVgprs: 42
; ScratchSize: 0
; MemoryBound: 0
; FloatMode: 240
; IeeeMode: 1
; LDSByteSize: 0 bytes/workgroup (compile time only)
; SGPRBlocks: 5
; VGPRBlocks: 5
; NumSGPRsForWavesPerEU: 47
; NumVGPRsForWavesPerEU: 42
; AccumOffset: 44
; Occupancy: 8
; WaveLimiterHint : 1
; COMPUTE_PGM_RSRC2:SCRATCH_EN: 0
; COMPUTE_PGM_RSRC2:USER_SGPR: 6
; COMPUTE_PGM_RSRC2:TRAP_HANDLER: 0
; COMPUTE_PGM_RSRC2:TGID_X_EN: 1
; COMPUTE_PGM_RSRC2:TGID_Y_EN: 1
; COMPUTE_PGM_RSRC2:TGID_Z_EN: 1
; COMPUTE_PGM_RSRC2:TIDIG_COMP_CNT: 0
; COMPUTE_PGM_RSRC3_GFX90A:ACCUM_OFFSET: 10
; COMPUTE_PGM_RSRC3_GFX90A:TG_SPLIT: 0
	.text
	.p2alignl 6, 3212836864
	.fill 256, 4, 3212836864
	.type	__hip_cuid_e4c543e6c3b71f6b,@object ; @__hip_cuid_e4c543e6c3b71f6b
	.section	.bss,"aw",@nobits
	.globl	__hip_cuid_e4c543e6c3b71f6b
__hip_cuid_e4c543e6c3b71f6b:
	.byte	0                               ; 0x0
	.size	__hip_cuid_e4c543e6c3b71f6b, 1

	.ident	"AMD clang version 19.0.0git (https://github.com/RadeonOpenCompute/llvm-project roc-6.4.0 25133 c7fe45cf4b819c5991fe208aaa96edf142730f1d)"
	.section	".note.GNU-stack","",@progbits
	.addrsig
	.addrsig_sym __hip_cuid_e4c543e6c3b71f6b
	.amdgpu_metadata
---
amdhsa.kernels:
  - .agpr_count:     0
    .args:
      - .address_space:  global
        .offset:         0
        .size:           8
        .value_kind:     global_buffer
      - .address_space:  global
        .offset:         8
        .size:           8
        .value_kind:     global_buffer
      - .address_space:  global
        .offset:         16
        .size:           8
        .value_kind:     global_buffer
      - .address_space:  global
        .offset:         24
        .size:           8
        .value_kind:     global_buffer
      - .address_space:  global
        .offset:         32
        .size:           8
        .value_kind:     global_buffer
      - .offset:         40
        .size:           8
        .value_kind:     by_value
      - .offset:         48
        .size:           8
        .value_kind:     by_value
      - .offset:         56
        .size:           4
        .value_kind:     hidden_block_count_x
      - .offset:         60
        .size:           4
        .value_kind:     hidden_block_count_y
      - .offset:         64
        .size:           4
        .value_kind:     hidden_block_count_z
      - .offset:         68
        .size:           2
        .value_kind:     hidden_group_size_x
      - .offset:         70
        .size:           2
        .value_kind:     hidden_group_size_y
      - .offset:         72
        .size:           2
        .value_kind:     hidden_group_size_z
      - .offset:         74
        .size:           2
        .value_kind:     hidden_remainder_x
      - .offset:         76
        .size:           2
        .value_kind:     hidden_remainder_y
      - .offset:         78
        .size:           2
        .value_kind:     hidden_remainder_z
      - .offset:         96
        .size:           8
        .value_kind:     hidden_global_offset_x
      - .offset:         104
        .size:           8
        .value_kind:     hidden_global_offset_y
      - .offset:         112
        .size:           8
        .value_kind:     hidden_global_offset_z
      - .offset:         120
        .size:           2
        .value_kind:     hidden_grid_dims
    .group_segment_fixed_size: 0
    .kernarg_segment_align: 8
    .kernarg_segment_size: 312
    .language:       OpenCL C
    .language_version:
      - 2
      - 0
    .max_flat_workgroup_size: 1024
    .name:           _ZN2at6native6detailL51split_with_sizes_copy_out_contiguous_no_cast_kernelEPPcS3_PlS4_S4_ll
    .private_segment_fixed_size: 0
    .sgpr_count:     38
    .sgpr_spill_count: 0
    .symbol:         _ZN2at6native6detailL51split_with_sizes_copy_out_contiguous_no_cast_kernelEPPcS3_PlS4_S4_ll.kd
    .uniform_work_group_size: 1
    .uses_dynamic_stack: false
    .vgpr_count:     22
    .vgpr_spill_count: 0
    .wavefront_size: 64
  - .agpr_count:     0
    .args:
      - .address_space:  global
        .offset:         0
        .size:           8
        .value_kind:     global_buffer
      - .address_space:  global
        .offset:         8
        .size:           8
        .value_kind:     global_buffer
      - .address_space:  global
        .offset:         16
        .size:           8
        .value_kind:     global_buffer
      - .address_space:  global
        .offset:         24
        .size:           8
        .value_kind:     global_buffer
      - .address_space:  global
        .offset:         32
        .size:           8
        .value_kind:     global_buffer
      - .address_space:  global
        .offset:         40
        .size:           8
        .value_kind:     global_buffer
      - .address_space:  global
        .offset:         48
        .size:           8
        .value_kind:     global_buffer
      - .address_space:  global
        .offset:         56
        .size:           8
        .value_kind:     global_buffer
      - .offset:         64
        .size:           8
        .value_kind:     by_value
      - .offset:         72
        .size:           8
        .value_kind:     by_value
      - .offset:         80
        .size:           8
        .value_kind:     by_value
    .group_segment_fixed_size: 0
    .kernarg_segment_align: 8
    .kernarg_segment_size: 88
    .language:       OpenCL C
    .language_version:
      - 2
      - 0
    .max_flat_workgroup_size: 1024
    .name:           _ZN2at6native6detailL21chunk_cat_cuda_kernelIccEEvPPT0_PT_PlS8_S8_S8_S8_S8_lll
    .private_segment_fixed_size: 0
    .sgpr_count:     47
    .sgpr_spill_count: 0
    .symbol:         _ZN2at6native6detailL21chunk_cat_cuda_kernelIccEEvPPT0_PT_PlS8_S8_S8_S8_S8_lll.kd
    .uniform_work_group_size: 1
    .uses_dynamic_stack: false
    .vgpr_count:     16
    .vgpr_spill_count: 0
    .wavefront_size: 64
  - .agpr_count:     0
    .args:
      - .address_space:  global
        .offset:         0
        .size:           8
        .value_kind:     global_buffer
      - .address_space:  global
        .offset:         8
        .size:           8
        .value_kind:     global_buffer
      - .address_space:  global
        .offset:         16
        .size:           8
        .value_kind:     global_buffer
      - .address_space:  global
        .offset:         24
        .size:           8
        .value_kind:     global_buffer
      - .address_space:  global
        .offset:         32
        .size:           8
        .value_kind:     global_buffer
      - .address_space:  global
        .offset:         40
        .size:           8
        .value_kind:     global_buffer
      - .address_space:  global
        .offset:         48
        .size:           8
        .value_kind:     global_buffer
      - .address_space:  global
        .offset:         56
        .size:           8
        .value_kind:     global_buffer
      - .offset:         64
        .size:           8
        .value_kind:     by_value
      - .offset:         72
        .size:           8
        .value_kind:     by_value
      - .offset:         80
        .size:           8
        .value_kind:     by_value
    .group_segment_fixed_size: 0
    .kernarg_segment_align: 8
    .kernarg_segment_size: 88
    .language:       OpenCL C
    .language_version:
      - 2
      - 0
    .max_flat_workgroup_size: 1024
    .name:           _ZN2at6native6detailL21chunk_cat_cuda_kernelIfN3c108BFloat16EEEvPPT0_PT_PlSA_SA_SA_SA_SA_lll
    .private_segment_fixed_size: 0
    .sgpr_count:     47
    .sgpr_spill_count: 0
    .symbol:         _ZN2at6native6detailL21chunk_cat_cuda_kernelIfN3c108BFloat16EEEvPPT0_PT_PlSA_SA_SA_SA_SA_lll.kd
    .uniform_work_group_size: 1
    .uses_dynamic_stack: false
    .vgpr_count:     42
    .vgpr_spill_count: 0
    .wavefront_size: 64
amdhsa.target:   amdgcn-amd-amdhsa--gfx90a
amdhsa.version:
  - 1
  - 2
...

	.end_amdgpu_metadata
